;; amdgpu-corpus repo=ROCm/rocFFT kind=compiled arch=gfx1201 opt=O3
	.text
	.amdgcn_target "amdgcn-amd-amdhsa--gfx1201"
	.amdhsa_code_object_version 6
	.protected	fft_rtc_fwd_len240_factors_2_3_10_2_2_wgs_180_tpt_20_dim3_sp_ip_CI_sbcc_twdbase8_2step_dirReg_intrinsicReadWrite ; -- Begin function fft_rtc_fwd_len240_factors_2_3_10_2_2_wgs_180_tpt_20_dim3_sp_ip_CI_sbcc_twdbase8_2step_dirReg_intrinsicReadWrite
	.globl	fft_rtc_fwd_len240_factors_2_3_10_2_2_wgs_180_tpt_20_dim3_sp_ip_CI_sbcc_twdbase8_2step_dirReg_intrinsicReadWrite
	.p2align	8
	.type	fft_rtc_fwd_len240_factors_2_3_10_2_2_wgs_180_tpt_20_dim3_sp_ip_CI_sbcc_twdbase8_2step_dirReg_intrinsicReadWrite,@function
fft_rtc_fwd_len240_factors_2_3_10_2_2_wgs_180_tpt_20_dim3_sp_ip_CI_sbcc_twdbase8_2step_dirReg_intrinsicReadWrite: ; @fft_rtc_fwd_len240_factors_2_3_10_2_2_wgs_180_tpt_20_dim3_sp_ip_CI_sbcc_twdbase8_2step_dirReg_intrinsicReadWrite
; %bb.0:
	s_load_b128 s[4:7], s[0:1], 0x10
	s_mov_b32 s11, 0
	s_mov_b32 s2, 0x71c4fc00
	s_movk_i32 s3, 0x7c
	s_mov_b32 s10, s11
	s_delay_alu instid0(SALU_CYCLE_1) | instskip(NEXT) | instid1(SALU_CYCLE_1)
	s_add_nc_u64 s[8:9], s[10:11], s[2:3]
	s_add_co_i32 s9, s9, 0x1c71c6a0
	s_delay_alu instid0(SALU_CYCLE_1) | instskip(NEXT) | instid1(SALU_CYCLE_1)
	s_mul_u64 s[12:13], s[8:9], -9
	s_mul_hi_u32 s15, s8, s13
	s_mul_i32 s14, s8, s13
	s_mul_hi_u32 s10, s8, s12
	s_mul_i32 s17, s9, s12
	s_add_nc_u64 s[14:15], s[10:11], s[14:15]
	s_mul_hi_u32 s16, s9, s12
	s_mul_hi_u32 s18, s9, s13
	s_add_co_u32 s10, s14, s17
	s_wait_kmcnt 0x0
	s_load_b64 s[2:3], s[4:5], 0x8
	s_add_co_ci_u32 s10, s15, s16
	s_mul_i32 s12, s9, s13
	s_add_co_ci_u32 s13, s18, 0
	s_delay_alu instid0(SALU_CYCLE_1) | instskip(NEXT) | instid1(SALU_CYCLE_1)
	s_add_nc_u64 s[12:13], s[10:11], s[12:13]
	v_add_co_u32 v1, s8, s8, s12
	s_delay_alu instid0(VALU_DEP_1) | instskip(SKIP_1) | instid1(VALU_DEP_1)
	s_cmp_lg_u32 s8, 0
	s_add_co_ci_u32 s14, s9, s13
	v_readfirstlane_b32 s15, v1
	s_wait_kmcnt 0x0
	s_add_nc_u64 s[8:9], s[2:3], -1
	s_wait_alu 0xfffe
	s_mul_hi_u32 s13, s8, s14
	s_mul_i32 s12, s8, s14
	s_mul_hi_u32 s10, s8, s15
	s_mul_hi_u32 s17, s9, s15
	s_mul_i32 s15, s9, s15
	s_wait_alu 0xfffe
	s_add_nc_u64 s[12:13], s[10:11], s[12:13]
	s_mul_hi_u32 s16, s9, s14
	s_wait_alu 0xfffe
	s_add_co_u32 s10, s12, s15
	s_add_co_ci_u32 s10, s13, s17
	s_mul_i32 s14, s9, s14
	s_add_co_ci_u32 s15, s16, 0
	s_delay_alu instid0(SALU_CYCLE_1) | instskip(SKIP_2) | instid1(SALU_CYCLE_1)
	s_add_nc_u64 s[12:13], s[10:11], s[14:15]
	s_wait_alu 0xfffe
	s_mul_u64 s[14:15], s[12:13], 9
	v_sub_co_u32 v1, s8, s8, s14
	s_delay_alu instid0(VALU_DEP_1) | instskip(SKIP_1) | instid1(VALU_DEP_1)
	s_cmp_lg_u32 s8, 0
	s_sub_co_ci_u32 s16, s9, s15
	v_sub_co_u32 v2, s10, v1, 9
	s_delay_alu instid0(VALU_DEP_1) | instskip(SKIP_2) | instid1(VALU_DEP_1)
	s_cmp_lg_u32 s10, 0
	s_add_nc_u64 s[14:15], s[12:13], 2
	s_sub_co_ci_u32 s10, s16, 0
	v_readfirstlane_b32 s8, v2
	s_delay_alu instid0(VALU_DEP_1)
	s_cmp_gt_u32 s8, 8
	s_add_nc_u64 s[8:9], s[12:13], 1
	s_cselect_b32 s17, -1, 0
	s_cmp_eq_u32 s10, 0
	s_cselect_b32 s10, s17, -1
	v_readfirstlane_b32 s17, v1
	s_cmp_lg_u32 s10, 0
	s_wait_alu 0xfffe
	s_cselect_b32 s8, s14, s8
	s_cselect_b32 s9, s15, s9
	s_cmp_gt_u32 s17, 8
	s_cselect_b32 s10, -1, 0
	s_cmp_eq_u32 s16, 0
	s_mov_b64 s[16:17], 0
	s_cselect_b32 s10, s10, -1
	s_delay_alu instid0(SALU_CYCLE_1)
	s_cmp_lg_u32 s10, 0
	s_mov_b32 s10, ttmp9
	s_wait_alu 0xfffe
	s_cselect_b32 s9, s9, s13
	s_cselect_b32 s8, s8, s12
	s_wait_alu 0xfffe
	s_add_nc_u64 s[12:13], s[8:9], 1
	s_wait_alu 0xfffe
	v_cmp_lt_u64_e64 s8, s[10:11], s[12:13]
	s_delay_alu instid0(VALU_DEP_1)
	s_and_b32 vcc_lo, exec_lo, s8
	s_cbranch_vccnz .LBB0_2
; %bb.1:
	v_cvt_f32_u32_e32 v1, s12
	s_sub_co_i32 s9, 0, s12
	s_mov_b32 s17, s11
	s_delay_alu instid0(VALU_DEP_1) | instskip(NEXT) | instid1(TRANS32_DEP_1)
	v_rcp_iflag_f32_e32 v1, v1
	v_mul_f32_e32 v1, 0x4f7ffffe, v1
	s_delay_alu instid0(VALU_DEP_1) | instskip(NEXT) | instid1(VALU_DEP_1)
	v_cvt_u32_f32_e32 v1, v1
	v_readfirstlane_b32 s8, v1
	s_wait_alu 0xfffe
	s_delay_alu instid0(VALU_DEP_1)
	s_mul_i32 s9, s9, s8
	s_wait_alu 0xfffe
	s_mul_hi_u32 s9, s8, s9
	s_wait_alu 0xfffe
	s_add_co_i32 s8, s8, s9
	s_wait_alu 0xfffe
	s_mul_hi_u32 s8, s10, s8
	s_wait_alu 0xfffe
	s_mul_i32 s9, s8, s12
	s_add_co_i32 s14, s8, 1
	s_wait_alu 0xfffe
	s_sub_co_i32 s9, s10, s9
	s_wait_alu 0xfffe
	s_sub_co_i32 s15, s9, s12
	s_cmp_ge_u32 s9, s12
	s_cselect_b32 s8, s14, s8
	s_wait_alu 0xfffe
	s_cselect_b32 s9, s15, s9
	s_add_co_i32 s14, s8, 1
	s_wait_alu 0xfffe
	s_cmp_ge_u32 s9, s12
	s_cselect_b32 s16, s14, s8
.LBB0_2:
	s_load_b64 s[22:23], s[4:5], 0x10
	s_load_b64 s[14:15], s[6:7], 0x8
	s_mov_b64 s[18:19], s[16:17]
	s_wait_kmcnt 0x0
	v_cmp_lt_u64_e64 s4, s[16:17], s[22:23]
	s_delay_alu instid0(VALU_DEP_1)
	s_and_b32 vcc_lo, exec_lo, s4
	s_cbranch_vccnz .LBB0_4
; %bb.3:
	v_cvt_f32_u32_e32 v1, s22
	s_sub_co_i32 s5, 0, s22
	s_mov_b32 s19, 0
	s_delay_alu instid0(VALU_DEP_1) | instskip(NEXT) | instid1(TRANS32_DEP_1)
	v_rcp_iflag_f32_e32 v1, v1
	v_mul_f32_e32 v1, 0x4f7ffffe, v1
	s_delay_alu instid0(VALU_DEP_1) | instskip(NEXT) | instid1(VALU_DEP_1)
	v_cvt_u32_f32_e32 v1, v1
	v_readfirstlane_b32 s4, v1
	s_delay_alu instid0(VALU_DEP_1) | instskip(NEXT) | instid1(SALU_CYCLE_1)
	s_mul_i32 s5, s5, s4
	s_mul_hi_u32 s5, s4, s5
	s_delay_alu instid0(SALU_CYCLE_1) | instskip(NEXT) | instid1(SALU_CYCLE_1)
	s_add_co_i32 s4, s4, s5
	s_mul_hi_u32 s4, s16, s4
	s_delay_alu instid0(SALU_CYCLE_1) | instskip(NEXT) | instid1(SALU_CYCLE_1)
	s_mul_i32 s4, s4, s22
	s_sub_co_i32 s4, s16, s4
	s_delay_alu instid0(SALU_CYCLE_1) | instskip(SKIP_2) | instid1(SALU_CYCLE_1)
	s_sub_co_i32 s5, s4, s22
	s_cmp_ge_u32 s4, s22
	s_cselect_b32 s4, s5, s4
	s_sub_co_i32 s5, s4, s22
	s_cmp_ge_u32 s4, s22
	s_cselect_b32 s18, s5, s4
.LBB0_4:
	s_load_b64 s[4:5], s[0:1], 0x50
	s_clause 0x1
	s_load_b64 s[8:9], s[6:7], 0x0
	s_load_b64 s[20:21], s[6:7], 0x10
	s_mul_u64 s[24:25], s[22:23], s[12:13]
	s_mov_b64 s[22:23], 0
	s_wait_kmcnt 0x0
	v_cmp_lt_u64_e64 s9, s[10:11], s[24:25]
	s_delay_alu instid0(VALU_DEP_1)
	s_and_b32 vcc_lo, exec_lo, s9
	s_cbranch_vccnz .LBB0_6
; %bb.5:
	v_cvt_f32_u32_e32 v1, s24
	s_sub_co_i32 s22, 0, s24
	s_delay_alu instid0(VALU_DEP_1) | instskip(NEXT) | instid1(TRANS32_DEP_1)
	v_rcp_iflag_f32_e32 v1, v1
	v_mul_f32_e32 v1, 0x4f7ffffe, v1
	s_delay_alu instid0(VALU_DEP_1) | instskip(NEXT) | instid1(VALU_DEP_1)
	v_cvt_u32_f32_e32 v1, v1
	v_readfirstlane_b32 s9, v1
	s_wait_alu 0xfffe
	s_delay_alu instid0(VALU_DEP_1)
	s_mul_i32 s22, s22, s9
	s_wait_alu 0xfffe
	s_mul_hi_u32 s22, s9, s22
	s_wait_alu 0xfffe
	s_add_co_i32 s9, s9, s22
	s_wait_alu 0xfffe
	s_mul_hi_u32 s9, s10, s9
	s_wait_alu 0xfffe
	s_mul_i32 s22, s9, s24
	s_add_co_i32 s23, s9, 1
	s_wait_alu 0xfffe
	s_sub_co_i32 s22, s10, s22
	s_wait_alu 0xfffe
	s_sub_co_i32 s25, s22, s24
	s_cmp_ge_u32 s22, s24
	s_cselect_b32 s9, s23, s9
	s_wait_alu 0xfffe
	s_cselect_b32 s22, s25, s22
	s_add_co_i32 s25, s9, 1
	s_wait_alu 0xfffe
	s_cmp_ge_u32 s22, s24
	s_mov_b32 s23, 0
	s_cselect_b32 s22, s25, s9
.LBB0_6:
	v_mul_u32_u24_e32 v1, 0x1c72, v0
	s_load_b64 s[6:7], s[6:7], 0x18
	s_mul_u64 s[12:13], s[16:17], s[12:13]
	v_mov_b32_e32 v4, 0
	s_wait_alu 0xfffe
	s_sub_nc_u64 s[10:11], s[10:11], s[12:13]
	v_lshrrev_b32_e32 v43, 16, v1
	s_wait_alu 0xfffe
	s_mul_u64 s[10:11], s[10:11], 9
	s_mul_u64 s[12:13], s[20:21], s[18:19]
	s_wait_alu 0xfffe
	s_add_nc_u64 s[18:19], s[10:11], 9
	s_mul_u64 s[16:17], s[14:15], s[10:11]
	v_mul_lo_u16 v1, v43, 9
	s_wait_alu 0xfffe
	s_add_nc_u64 s[12:13], s[12:13], s[16:17]
	s_delay_alu instid0(VALU_DEP_1) | instskip(NEXT) | instid1(VALU_DEP_1)
	v_sub_nc_u16 v1, v0, v1
	v_and_b32_e32 v25, 0xffff, v1
	s_wait_kmcnt 0x0
	s_mul_u64 s[6:7], s[6:7], s[22:23]
	s_wait_alu 0xfffe
	s_add_nc_u64 s[6:7], s[6:7], s[12:13]
	v_mad_co_u64_u32 v[37:38], null, s14, v25, 0
	s_delay_alu instid0(VALU_DEP_1)
	v_mov_b32_e32 v1, v38
	v_add_co_u32 v38, s9, s10, v25
	s_wait_alu 0xf1ff
	v_add_co_ci_u32_e64 v39, null, s11, 0, s9
	v_cmp_le_u64_e64 s9, s[18:19], s[2:3]
	v_mad_co_u64_u32 v[1:2], null, s15, v25, v[1:2]
	v_mov_b32_e32 v2, 0
	s_delay_alu instid0(VALU_DEP_4)
	v_cmp_gt_u64_e32 vcc_lo, s[2:3], v[38:39]
	v_mov_b32_e32 v1, 0
	s_or_b32 s3, s9, vcc_lo
	s_wait_alu 0xfffe
	s_and_saveexec_b32 s2, s3
	s_cbranch_execz .LBB0_8
; %bb.7:
	v_mul_lo_u32 v1, s8, v43
	v_mov_b32_e32 v2, 0
	s_delay_alu instid0(VALU_DEP_2) | instskip(NEXT) | instid1(VALU_DEP_1)
	v_add3_u32 v1, s6, v37, v1
	v_lshlrev_b64_e32 v[1:2], 3, v[1:2]
	s_delay_alu instid0(VALU_DEP_1) | instskip(NEXT) | instid1(VALU_DEP_2)
	v_add_co_u32 v1, vcc_lo, s4, v1
	v_add_co_ci_u32_e32 v2, vcc_lo, s5, v2, vcc_lo
	global_load_b64 v[1:2], v[1:2], off
.LBB0_8:
	s_wait_alu 0xfffe
	s_or_b32 exec_lo, exec_lo, s2
	v_dual_mov_b32 v3, 0 :: v_dual_add_nc_u32 v44, 0x78, v43
	s_and_saveexec_b32 s2, s3
	s_cbranch_execz .LBB0_10
; %bb.9:
	s_delay_alu instid0(VALU_DEP_1) | instskip(SKIP_1) | instid1(VALU_DEP_2)
	v_mul_lo_u32 v3, s8, v44
	v_mov_b32_e32 v4, 0
	v_add3_u32 v3, s6, v37, v3
	s_delay_alu instid0(VALU_DEP_1) | instskip(NEXT) | instid1(VALU_DEP_1)
	v_lshlrev_b64_e32 v[3:4], 3, v[3:4]
	v_add_co_u32 v3, vcc_lo, s4, v3
	s_wait_alu 0xfffd
	s_delay_alu instid0(VALU_DEP_2)
	v_add_co_ci_u32_e32 v4, vcc_lo, s5, v4, vcc_lo
	global_load_b64 v[3:4], v[3:4], off
.LBB0_10:
	s_wait_alu 0xfffe
	s_or_b32 exec_lo, exec_lo, s2
	v_dual_mov_b32 v8, 0 :: v_dual_add_nc_u32 v45, 20, v43
	v_dual_mov_b32 v6, 0 :: v_dual_mov_b32 v5, 0
	s_and_saveexec_b32 s2, s3
	s_cbranch_execz .LBB0_12
; %bb.11:
	s_delay_alu instid0(VALU_DEP_2) | instskip(SKIP_1) | instid1(VALU_DEP_2)
	v_mul_lo_u32 v5, s8, v45
	v_mov_b32_e32 v6, 0
	v_add3_u32 v5, s6, v37, v5
	s_delay_alu instid0(VALU_DEP_1) | instskip(NEXT) | instid1(VALU_DEP_1)
	v_lshlrev_b64_e32 v[5:6], 3, v[5:6]
	v_add_co_u32 v5, vcc_lo, s4, v5
	s_wait_alu 0xfffd
	s_delay_alu instid0(VALU_DEP_2)
	v_add_co_ci_u32_e32 v6, vcc_lo, s5, v6, vcc_lo
	global_load_b64 v[5:6], v[5:6], off
.LBB0_12:
	s_wait_alu 0xfffe
	s_or_b32 exec_lo, exec_lo, s2
	v_mov_b32_e32 v7, 0
	s_and_saveexec_b32 s2, s3
	s_cbranch_execz .LBB0_14
; %bb.13:
	v_dual_mov_b32 v8, 0 :: v_dual_add_nc_u32 v7, 0x8c, v43
	s_delay_alu instid0(VALU_DEP_1) | instskip(NEXT) | instid1(VALU_DEP_1)
	v_mul_lo_u32 v7, s8, v7
	v_add3_u32 v7, s6, v37, v7
	s_delay_alu instid0(VALU_DEP_1) | instskip(NEXT) | instid1(VALU_DEP_1)
	v_lshlrev_b64_e32 v[7:8], 3, v[7:8]
	v_add_co_u32 v7, vcc_lo, s4, v7
	s_wait_alu 0xfffd
	s_delay_alu instid0(VALU_DEP_2)
	v_add_co_ci_u32_e32 v8, vcc_lo, s5, v8, vcc_lo
	global_load_b64 v[7:8], v[7:8], off
.LBB0_14:
	s_wait_alu 0xfffe
	s_or_b32 exec_lo, exec_lo, s2
	v_dual_mov_b32 v12, 0 :: v_dual_add_nc_u32 v47, 40, v43
	v_dual_mov_b32 v10, 0 :: v_dual_mov_b32 v9, 0
	s_and_saveexec_b32 s2, s3
	s_cbranch_execz .LBB0_16
; %bb.15:
	s_delay_alu instid0(VALU_DEP_2) | instskip(SKIP_1) | instid1(VALU_DEP_2)
	v_mul_lo_u32 v9, s8, v47
	v_mov_b32_e32 v10, 0
	v_add3_u32 v9, s6, v37, v9
	s_delay_alu instid0(VALU_DEP_1) | instskip(NEXT) | instid1(VALU_DEP_1)
	v_lshlrev_b64_e32 v[9:10], 3, v[9:10]
	v_add_co_u32 v9, vcc_lo, s4, v9
	s_wait_alu 0xfffd
	s_delay_alu instid0(VALU_DEP_2)
	v_add_co_ci_u32_e32 v10, vcc_lo, s5, v10, vcc_lo
	global_load_b64 v[9:10], v[9:10], off
.LBB0_16:
	s_wait_alu 0xfffe
	s_or_b32 exec_lo, exec_lo, s2
	v_mov_b32_e32 v11, 0
	s_and_saveexec_b32 s2, s3
	s_cbranch_execz .LBB0_18
; %bb.17:
	v_or_b32_e32 v11, 0xa0, v43
	v_mov_b32_e32 v12, 0
	s_delay_alu instid0(VALU_DEP_2) | instskip(NEXT) | instid1(VALU_DEP_1)
	v_mul_lo_u32 v11, s8, v11
	v_add3_u32 v11, s6, v37, v11
	s_delay_alu instid0(VALU_DEP_1) | instskip(NEXT) | instid1(VALU_DEP_1)
	v_lshlrev_b64_e32 v[11:12], 3, v[11:12]
	v_add_co_u32 v11, vcc_lo, s4, v11
	s_wait_alu 0xfffd
	s_delay_alu instid0(VALU_DEP_2)
	v_add_co_ci_u32_e32 v12, vcc_lo, s5, v12, vcc_lo
	global_load_b64 v[11:12], v[11:12], off
.LBB0_18:
	s_wait_alu 0xfffe
	s_or_b32 exec_lo, exec_lo, s2
	v_dual_mov_b32 v13, 0 :: v_dual_add_nc_u32 v48, 60, v43
	v_mov_b32_e32 v16, 0
	v_mov_b32_e32 v14, 0
	s_and_saveexec_b32 s2, s3
	s_cbranch_execz .LBB0_20
; %bb.19:
	v_mul_lo_u32 v13, s8, v48
	v_mov_b32_e32 v14, 0
	s_delay_alu instid0(VALU_DEP_2) | instskip(NEXT) | instid1(VALU_DEP_1)
	v_add3_u32 v13, s6, v37, v13
	v_lshlrev_b64_e32 v[13:14], 3, v[13:14]
	s_delay_alu instid0(VALU_DEP_1) | instskip(SKIP_1) | instid1(VALU_DEP_2)
	v_add_co_u32 v13, vcc_lo, s4, v13
	s_wait_alu 0xfffd
	v_add_co_ci_u32_e32 v14, vcc_lo, s5, v14, vcc_lo
	global_load_b64 v[13:14], v[13:14], off
.LBB0_20:
	s_wait_alu 0xfffe
	s_or_b32 exec_lo, exec_lo, s2
	v_mov_b32_e32 v15, 0
	s_and_saveexec_b32 s2, s3
	s_cbranch_execz .LBB0_22
; %bb.21:
	v_dual_mov_b32 v16, 0 :: v_dual_add_nc_u32 v15, 0xb4, v43
	s_delay_alu instid0(VALU_DEP_1) | instskip(NEXT) | instid1(VALU_DEP_1)
	v_mul_lo_u32 v15, s8, v15
	v_add3_u32 v15, s6, v37, v15
	s_delay_alu instid0(VALU_DEP_1) | instskip(NEXT) | instid1(VALU_DEP_1)
	v_lshlrev_b64_e32 v[15:16], 3, v[15:16]
	v_add_co_u32 v15, vcc_lo, s4, v15
	s_wait_alu 0xfffd
	s_delay_alu instid0(VALU_DEP_2)
	v_add_co_ci_u32_e32 v16, vcc_lo, s5, v16, vcc_lo
	global_load_b64 v[15:16], v[15:16], off
.LBB0_22:
	s_wait_alu 0xfffe
	s_or_b32 exec_lo, exec_lo, s2
	v_dual_mov_b32 v20, 0 :: v_dual_add_nc_u32 v49, 0x50, v43
	v_dual_mov_b32 v18, 0 :: v_dual_mov_b32 v17, 0
	s_and_saveexec_b32 s2, s3
	s_cbranch_execz .LBB0_24
; %bb.23:
	s_delay_alu instid0(VALU_DEP_2) | instskip(SKIP_1) | instid1(VALU_DEP_2)
	v_mul_lo_u32 v17, s8, v49
	v_mov_b32_e32 v18, 0
	v_add3_u32 v17, s6, v37, v17
	s_delay_alu instid0(VALU_DEP_1) | instskip(NEXT) | instid1(VALU_DEP_1)
	v_lshlrev_b64_e32 v[17:18], 3, v[17:18]
	v_add_co_u32 v17, vcc_lo, s4, v17
	s_wait_alu 0xfffd
	s_delay_alu instid0(VALU_DEP_2)
	v_add_co_ci_u32_e32 v18, vcc_lo, s5, v18, vcc_lo
	global_load_b64 v[17:18], v[17:18], off
.LBB0_24:
	s_wait_alu 0xfffe
	s_or_b32 exec_lo, exec_lo, s2
	v_mov_b32_e32 v19, 0
	s_and_saveexec_b32 s2, s3
	s_cbranch_execz .LBB0_26
; %bb.25:
	v_dual_mov_b32 v20, 0 :: v_dual_add_nc_u32 v19, 0xc8, v43
	s_delay_alu instid0(VALU_DEP_1) | instskip(NEXT) | instid1(VALU_DEP_1)
	v_mul_lo_u32 v19, s8, v19
	v_add3_u32 v19, s6, v37, v19
	s_delay_alu instid0(VALU_DEP_1) | instskip(NEXT) | instid1(VALU_DEP_1)
	v_lshlrev_b64_e32 v[19:20], 3, v[19:20]
	v_add_co_u32 v19, vcc_lo, s4, v19
	s_wait_alu 0xfffd
	s_delay_alu instid0(VALU_DEP_2)
	v_add_co_ci_u32_e32 v20, vcc_lo, s5, v20, vcc_lo
	global_load_b64 v[19:20], v[19:20], off
.LBB0_26:
	s_wait_alu 0xfffe
	s_or_b32 exec_lo, exec_lo, s2
	s_load_b64 s[10:11], s[0:1], 0x0
	v_dual_mov_b32 v21, 0 :: v_dual_add_nc_u32 v46, 0x64, v43
	v_mov_b32_e32 v24, 0
	v_mov_b32_e32 v22, 0
	s_and_saveexec_b32 s2, s3
	s_cbranch_execz .LBB0_28
; %bb.27:
	v_mul_lo_u32 v21, s8, v46
	v_mov_b32_e32 v22, 0
	s_delay_alu instid0(VALU_DEP_2) | instskip(NEXT) | instid1(VALU_DEP_1)
	v_add3_u32 v21, s6, v37, v21
	v_lshlrev_b64_e32 v[21:22], 3, v[21:22]
	s_delay_alu instid0(VALU_DEP_1) | instskip(SKIP_1) | instid1(VALU_DEP_2)
	v_add_co_u32 v21, vcc_lo, s4, v21
	s_wait_alu 0xfffd
	v_add_co_ci_u32_e32 v22, vcc_lo, s5, v22, vcc_lo
	global_load_b64 v[21:22], v[21:22], off
.LBB0_28:
	s_wait_alu 0xfffe
	s_or_b32 exec_lo, exec_lo, s2
	v_mov_b32_e32 v23, 0
	s_and_saveexec_b32 s2, s3
	s_cbranch_execz .LBB0_30
; %bb.29:
	v_dual_mov_b32 v24, 0 :: v_dual_add_nc_u32 v23, 0xdc, v43
	s_delay_alu instid0(VALU_DEP_1) | instskip(NEXT) | instid1(VALU_DEP_1)
	v_mul_lo_u32 v23, s8, v23
	v_add3_u32 v23, s6, v37, v23
	s_delay_alu instid0(VALU_DEP_1) | instskip(NEXT) | instid1(VALU_DEP_1)
	v_lshlrev_b64_e32 v[23:24], 3, v[23:24]
	v_add_co_u32 v23, vcc_lo, s4, v23
	s_wait_alu 0xfffd
	s_delay_alu instid0(VALU_DEP_2)
	v_add_co_ci_u32_e32 v24, vcc_lo, s5, v24, vcc_lo
	global_load_b64 v[23:24], v[23:24], off
.LBB0_30:
	s_wait_alu 0xfffe
	s_or_b32 exec_lo, exec_lo, s2
	v_mul_u32_u24_e32 v26, 0x90, v43
	s_wait_loadcnt 0x0
	v_dual_sub_f32 v20, v18, v20 :: v_dual_lshlrev_b32 v53, 3, v25
	v_dual_sub_f32 v3, v1, v3 :: v_dual_sub_f32 v4, v2, v4
	v_dual_sub_f32 v7, v5, v7 :: v_dual_sub_f32 v8, v6, v8
	s_delay_alu instid0(VALU_DEP_3) | instskip(SKIP_1) | instid1(VALU_DEP_4)
	v_add3_u32 v25, 0, v26, v53
	v_dual_sub_f32 v11, v9, v11 :: v_dual_sub_f32 v12, v10, v12
	v_fma_f32 v1, v1, 2.0, -v3
	v_fma_f32 v2, v2, 2.0, -v4
	v_dual_sub_f32 v15, v13, v15 :: v_dual_sub_f32 v16, v14, v16
	v_fma_f32 v5, v5, 2.0, -v7
	v_fma_f32 v6, v6, 2.0, -v8
	v_dual_sub_f32 v23, v21, v23 :: v_dual_add_nc_u32 v26, 0x800, v25
	v_fma_f32 v9, v9, 2.0, -v11
	v_fma_f32 v10, v10, 2.0, -v12
	;; [unrolled: 1-line block ×3, first 2 shown]
	v_dual_sub_f32 v19, v17, v19 :: v_dual_sub_f32 v24, v22, v24
	v_fma_f32 v14, v14, 2.0, -v16
	v_add_nc_u32_e32 v27, 0x1000, v25
	ds_store_2addr_b64 v25, v[1:2], v[3:4] offset1:9
	ds_store_2addr_b64 v26, v[5:6], v[7:8] offset0:104 offset1:113
	v_add_nc_u32_e32 v1, 0x2000, v25
	v_fma_f32 v17, v17, 2.0, -v19
	v_fma_f32 v18, v18, 2.0, -v20
	ds_store_2addr_b64 v27, v[9:10], v[11:12] offset0:208 offset1:217
	v_add_nc_u32_e32 v2, 0x2c00, v25
	ds_store_b64 v25, v[13:14] offset:8640
	ds_store_2addr_b32 v1, v15, v16 offset0:130 offset1:131
	v_and_b32_e32 v1, 1, v43
	v_fma_f32 v21, v21, 2.0, -v23
	v_fma_f32 v22, v22, 2.0, -v24
	v_add_nc_u32_e32 v3, 0x3800, v25
	ds_store_2addr_b32 v2, v17, v18 offset0:64 offset1:65
	ds_store_2addr_b32 v2, v19, v20 offset0:82 offset1:83
	ds_store_2addr_b32 v3, v21, v22 offset0:16 offset1:17
	ds_store_2addr_b32 v3, v23, v24 offset0:34 offset1:35
	v_lshlrev_b32_e32 v2, 4, v1
	global_wb scope:SCOPE_SE
	s_wait_dscnt 0x0
	s_wait_kmcnt 0x0
	s_barrier_signal -1
	s_barrier_wait -1
	global_inv scope:SCOPE_SE
	global_load_b128 v[3:6], v2, s[10:11]
	v_mul_u32_u24_e32 v2, 0x48, v43
	v_lshrrev_b32_e32 v7, 1, v43
	v_lshrrev_b32_e32 v8, 1, v45
	;; [unrolled: 1-line block ×4, first 2 shown]
	v_add3_u32 v50, 0, v2, v53
	v_mul_u32_u24_e32 v2, 6, v7
	v_mul_u32_u24_e32 v7, 6, v8
	;; [unrolled: 1-line block ×4, first 2 shown]
	v_add_nc_u32_e32 v10, 0x2d00, v25
	v_add_nc_u32_e32 v11, 0x2600, v50
	;; [unrolled: 1-line block ×4, first 2 shown]
	v_or_b32_e32 v2, v2, v1
	v_mad_i32_i24 v52, 0xffffffb8, v49, v10
	v_or_b32_e32 v25, v7, v1
	v_or_b32_e32 v26, v8, v1
	;; [unrolled: 1-line block ×3, first 2 shown]
	ds_load_2addr_b64 v[7:10], v11 offset0:44 offset1:224
	ds_load_2addr_b64 v[11:14], v12 offset0:4 offset1:184
	;; [unrolled: 1-line block ×3, first 2 shown]
	ds_load_b64 v[19:20], v52
	ds_load_b64 v[21:22], v50
	ds_load_b64 v[23:24], v50 offset:15840
	v_mul_u32_u24_e32 v2, 0x48, v2
	v_add_nc_u32_e32 v51, 0xffffef20, v52
	v_mul_u32_u24_e32 v25, 0x48, v25
	v_mul_u32_u24_e32 v26, 0x48, v26
	;; [unrolled: 1-line block ×3, first 2 shown]
	v_add3_u32 v31, 0, v2, v53
	v_add_nc_u32_e32 v30, 0x1a00, v50
	v_add3_u32 v32, 0, v25, v53
	v_add3_u32 v34, 0, v26, v53
	;; [unrolled: 1-line block ×3, first 2 shown]
	v_add_nc_u32_e32 v42, 0x3600, v50
	v_cmp_gt_u32_e32 vcc_lo, 36, v0
	s_wait_loadcnt_dscnt 0x3
	v_dual_mul_f32 v61, v6, v17 :: v_dual_mul_f32 v58, v4, v14
	s_wait_dscnt 0x0
	v_dual_mul_f32 v63, v24, v6 :: v_dual_add_nc_u32 v2, 0x400, v51
	v_dual_mul_f32 v60, v6, v18 :: v_dual_add_nc_u32 v33, 0x800, v51
	ds_load_2addr_b32 v[25:26], v51 offset1:1
	ds_load_2addr_b32 v[27:28], v2 offset0:104 offset1:105
	ds_load_2addr_b32 v[1:2], v33 offset0:208 offset1:209
	v_mul_f32_e32 v33, v4, v20
	v_dual_mul_f32 v36, v4, v19 :: v_dual_mul_f32 v39, v6, v10
	v_mul_f32_e32 v40, v6, v9
	v_mul_f32_e32 v54, v4, v12
	v_dual_mul_f32 v55, v4, v11 :: v_dual_mul_f32 v56, v6, v16
	v_mul_f32_e32 v57, v6, v15
	v_mul_f32_e32 v59, v4, v13
	v_dual_fmac_f32 v36, v3, v20 :: v_dual_add_nc_u32 v29, 0xd00, v50
	v_mul_f32_e32 v62, v4, v8
	v_mul_f32_e32 v4, v4, v7
	v_dual_mul_f32 v64, v23, v6 :: v_dual_fmac_f32 v57, v5, v16
	v_fma_f32 v6, v3, v19, -v33
	v_fma_f32 v9, v5, v9, -v39
	v_dual_fmac_f32 v40, v5, v10 :: v_dual_fmac_f32 v55, v3, v12
	v_fma_f32 v10, v3, v11, -v54
	v_fma_f32 v11, v5, v15, -v56
	;; [unrolled: 1-line block ×3, first 2 shown]
	v_dual_fmac_f32 v59, v3, v14 :: v_dual_fmac_f32 v64, v24, v5
	v_fma_f32 v13, v5, v17, -v60
	v_fmac_f32_e32 v61, v5, v18
	v_dual_fmac_f32 v4, v3, v8 :: v_dual_add_nc_u32 v41, 0x2800, v50
	v_fma_f32 v7, v3, v7, -v62
	v_fma_f32 v14, v23, v5, -v63
	v_dual_add_f32 v3, v21, v6 :: v_dual_add_f32 v16, v36, v40
	v_add_f32_e32 v5, v6, v9
	v_dual_sub_f32 v15, v36, v40 :: v_dual_add_f32 v18, v10, v11
	v_dual_add_f32 v23, v55, v57 :: v_dual_sub_f32 v24, v10, v11
	v_dual_add_f32 v8, v22, v36 :: v_dual_add_f32 v33, v12, v13
	v_add_f32_e32 v54, v59, v61
	s_wait_dscnt 0x2
	v_dual_sub_f32 v17, v6, v9 :: v_dual_add_f32 v6, v25, v10
	s_wait_dscnt 0x1
	v_add_f32_e32 v10, v27, v12
	v_dual_sub_f32 v19, v55, v57 :: v_dual_add_f32 v20, v26, v55
	v_dual_sub_f32 v55, v12, v13 :: v_dual_add_f32 v56, v7, v14
	s_wait_dscnt 0x0
	v_add_f32_e32 v12, v1, v7
	v_add_f32_e32 v60, v4, v64
	v_fma_f32 v21, -0.5, v5, v21
	v_dual_add_f32 v5, v6, v11 :: v_dual_fmac_f32 v22, -0.5, v16
	v_fma_f32 v25, -0.5, v18, v25
	v_fmac_f32_e32 v26, -0.5, v23
	v_dual_sub_f32 v36, v59, v61 :: v_dual_add_f32 v39, v28, v59
	v_add_f32_e32 v59, v2, v4
	v_fma_f32 v27, -0.5, v33, v27
	v_fmac_f32_e32 v28, -0.5, v54
	v_dual_sub_f32 v58, v4, v64 :: v_dual_add_f32 v3, v3, v9
	v_dual_sub_f32 v62, v7, v14 :: v_dual_add_f32 v7, v10, v13
	v_dual_add_f32 v4, v8, v40 :: v_dual_fmamk_f32 v11, v15, 0x3f5db3d7, v21
	v_add_f32_e32 v9, v12, v14
	v_fma_f32 v1, -0.5, v56, v1
	v_fmac_f32_e32 v2, -0.5, v60
	v_fmamk_f32 v12, v17, 0xbf5db3d7, v22
	v_dual_add_f32 v6, v20, v57 :: v_dual_fmac_f32 v21, 0xbf5db3d7, v15
	v_dual_fmac_f32 v22, 0x3f5db3d7, v17 :: v_dual_fmamk_f32 v13, v19, 0x3f5db3d7, v25
	v_fmamk_f32 v14, v24, 0xbf5db3d7, v26
	v_dual_add_f32 v8, v39, v61 :: v_dual_fmac_f32 v25, 0xbf5db3d7, v19
	v_dual_fmac_f32 v26, 0x3f5db3d7, v24 :: v_dual_fmamk_f32 v15, v36, 0x3f5db3d7, v27
	v_dual_fmac_f32 v27, 0xbf5db3d7, v36 :: v_dual_fmamk_f32 v16, v55, 0xbf5db3d7, v28
	v_fmac_f32_e32 v28, 0x3f5db3d7, v55
	global_wb scope:SCOPE_SE
	s_barrier_signal -1
	s_barrier_wait -1
	global_inv scope:SCOPE_SE
	v_dual_add_f32 v10, v59, v64 :: v_dual_fmamk_f32 v39, v58, 0x3f5db3d7, v1
	v_dual_fmac_f32 v1, 0xbf5db3d7, v58 :: v_dual_fmamk_f32 v40, v62, 0xbf5db3d7, v2
	v_fmac_f32_e32 v2, 0x3f5db3d7, v62
	ds_store_2addr_b64 v31, v[3:4], v[11:12] offset1:18
	ds_store_b64 v31, v[21:22] offset:288
	ds_store_2addr_b64 v32, v[5:6], v[13:14] offset1:18
	ds_store_b64 v32, v[25:26] offset:288
	;; [unrolled: 2-line block ×4, first 2 shown]
	global_wb scope:SCOPE_SE
	s_wait_dscnt 0x0
	s_barrier_signal -1
	s_barrier_wait -1
	global_inv scope:SCOPE_SE
	ds_load_2addr_b64 v[17:20], v50 offset1:216
	ds_load_2addr_b64 v[33:36], v29 offset0:16 offset1:232
	ds_load_2addr_b64 v[29:32], v30 offset0:32 offset1:248
	ds_load_2addr_b64 v[25:28], v41 offset0:16 offset1:232
	ds_load_2addr_b64 v[21:24], v42 offset1:216
                                        ; implicit-def: $vgpr42
                                        ; implicit-def: $vgpr8
                                        ; implicit-def: $vgpr12
                                        ; implicit-def: $vgpr16
	s_and_saveexec_b32 s2, vcc_lo
	s_cbranch_execz .LBB0_32
; %bb.31:
	v_add_nc_u32_e32 v1, 0xc00, v50
	v_add_nc_u32_e32 v5, 0x1900, v50
	v_add_nc_u32_e32 v6, 0x2700, v50
	v_add_nc_u32_e32 v7, 0x3400, v50
	ds_load_2addr_b32 v[39:40], v51 offset1:1
	ds_load_2addr_b64 v[1:4], v1 offset0:12 offset1:228
	ds_load_2addr_b64 v[13:16], v5 offset0:28 offset1:244
	;; [unrolled: 1-line block ×4, first 2 shown]
	ds_load_b64 v[41:42], v50 offset:16992
.LBB0_32:
	s_wait_alu 0xfffe
	s_or_b32 exec_lo, exec_lo, s2
	v_mul_lo_u16 v54, v43, 43
	s_delay_alu instid0(VALU_DEP_1) | instskip(NEXT) | instid1(VALU_DEP_1)
	v_lshrrev_b16 v54, 8, v54
	v_mul_lo_u16 v55, v54, 6
	s_delay_alu instid0(VALU_DEP_1) | instskip(NEXT) | instid1(VALU_DEP_1)
	v_sub_nc_u16 v55, v43, v55
	v_and_b32_e32 v55, 0xff, v55
	s_delay_alu instid0(VALU_DEP_1) | instskip(NEXT) | instid1(VALU_DEP_1)
	v_mul_u32_u24_e32 v56, 9, v55
	v_lshlrev_b32_e32 v72, 3, v56
	s_clause 0x4
	global_load_b128 v[56:59], v72, s[10:11] offset:32
	global_load_b128 v[60:63], v72, s[10:11] offset:48
	;; [unrolled: 1-line block ×4, first 2 shown]
	global_load_b64 v[72:73], v72, s[10:11] offset:96
	v_and_b32_e32 v54, 0xffff, v54
	global_wb scope:SCOPE_SE
	s_wait_loadcnt_dscnt 0x0
	s_barrier_signal -1
	s_barrier_wait -1
	global_inv scope:SCOPE_SE
	v_dual_mul_f32 v77, v57, v20 :: v_dual_mul_f32 v78, v59, v34
	v_mad_u32_u24 v54, v54, 60, v55
	v_dual_mul_f32 v80, v63, v30 :: v_dual_add_nc_u32 v55, 0xb40, v51
	v_mul_f32_e32 v57, v57, v19
	v_mul_f32_e32 v59, v59, v33
	s_delay_alu instid0(VALU_DEP_4) | instskip(SKIP_3) | instid1(VALU_DEP_4)
	v_mul_u32_u24_e32 v74, 0x48, v54
	v_dual_mul_f32 v81, v65, v32 :: v_dual_add_nc_u32 v54, 0x5a0, v51
	v_mul_f32_e32 v84, v71, v22
	v_fma_f32 v77, v56, v19, -v77
	v_add3_u32 v74, 0, v74, v53
	v_fma_f32 v19, v58, v33, -v78
	v_mul_f32_e32 v63, v63, v29
	v_mul_f32_e32 v79, v61, v36
	v_dual_mul_f32 v61, v61, v35 :: v_dual_mul_f32 v82, v67, v26
	v_add_nc_u32_e32 v76, 0x800, v74
	v_fma_f32 v29, v62, v29, -v80
	v_fmac_f32_e32 v59, v58, v34
	v_mul_f32_e32 v67, v67, v25
	v_fma_f32 v25, v66, v25, -v82
	v_fmac_f32_e32 v57, v56, v20
	v_fma_f32 v20, v60, v35, -v79
	v_dual_mul_f32 v71, v71, v21 :: v_dual_sub_f32 v34, v29, v19
	s_delay_alu instid0(VALU_DEP_4) | instskip(SKIP_2) | instid1(VALU_DEP_4)
	v_sub_f32_e32 v58, v29, v25
	v_fma_f32 v21, v70, v21, -v84
	v_add_nc_u32_e32 v75, 0x400, v74
	v_fmac_f32_e32 v71, v70, v22
	v_fmac_f32_e32 v63, v62, v30
	v_dual_fmac_f32 v61, v60, v36 :: v_dual_add_f32 v36, v18, v59
	v_fmac_f32_e32 v67, v66, v26
	v_fma_f32 v30, v64, v31, -v81
	s_delay_alu instid0(VALU_DEP_2) | instskip(SKIP_1) | instid1(VALU_DEP_3)
	v_dual_sub_f32 v62, v71, v67 :: v_dual_mul_f32 v85, v24, v73
	v_add_f32_e32 v56, v63, v67
	v_dual_mul_f32 v73, v23, v73 :: v_dual_sub_f32 v82, v30, v20
	v_sub_f32_e32 v60, v59, v63
	s_delay_alu instid0(VALU_DEP_4) | instskip(SKIP_1) | instid1(VALU_DEP_4)
	v_fma_f32 v22, v23, v72, -v85
	v_add_f32_e32 v23, v17, v19
	v_dual_fmac_f32 v73, v24, v72 :: v_dual_add_f32 v24, v29, v25
	s_delay_alu instid0(VALU_DEP_1) | instskip(SKIP_4) | instid1(VALU_DEP_3)
	v_sub_f32_e32 v72, v61, v73
	v_mul_f32_e32 v83, v69, v28
	v_mul_f32_e32 v69, v69, v27
	v_sub_f32_e32 v66, v67, v71
	v_fma_f32 v91, -0.5, v24, v17
	v_dual_fmac_f32 v69, v68, v28 :: v_dual_sub_f32 v28, v63, v67
	v_fma_f32 v26, v68, v27, -v83
	v_mul_f32_e32 v65, v65, v31
	v_dual_add_f32 v68, v77, v20 :: v_dual_sub_f32 v31, v19, v29
	s_delay_alu instid0(VALU_DEP_2) | instskip(SKIP_3) | instid1(VALU_DEP_4)
	v_dual_add_f32 v70, v30, v26 :: v_dual_fmac_f32 v65, v64, v32
	v_add_f32_e32 v64, v59, v71
	v_dual_sub_f32 v32, v21, v25 :: v_dual_sub_f32 v83, v26, v22
	v_add_f32_e32 v33, v19, v21
	v_dual_sub_f32 v78, v65, v69 :: v_dual_sub_f32 v27, v59, v71
	v_sub_f32_e32 v86, v30, v26
	v_dual_add_f32 v84, v57, v61 :: v_dual_sub_f32 v79, v20, v30
	v_sub_f32_e32 v90, v69, v73
	v_dual_add_f32 v30, v68, v30 :: v_dual_sub_f32 v35, v25, v21
	v_add_f32_e32 v24, v31, v32
	v_dual_sub_f32 v59, v63, v59 :: v_dual_sub_f32 v88, v73, v69
	v_sub_f32_e32 v87, v61, v65
	v_add_f32_e32 v81, v20, v22
	v_dual_sub_f32 v20, v20, v22 :: v_dual_add_f32 v23, v23, v29
	v_add_f32_e32 v29, v36, v63
	v_fma_f32 v36, -0.5, v56, v18
	v_add_f32_e32 v56, v82, v83
	v_fma_f32 v32, -0.5, v33, v17
	v_sub_f32_e32 v19, v19, v21
	v_add_f32_e32 v17, v34, v35
	v_fma_f32 v34, -0.5, v64, v18
	v_dual_add_f32 v85, v65, v69 :: v_dual_add_f32 v18, v59, v66
	v_add_f32_e32 v89, v61, v73
	v_sub_f32_e32 v61, v65, v61
	v_add_f32_e32 v31, v60, v62
	v_fma_f32 v33, -0.5, v70, v77
	v_add_f32_e32 v59, v84, v65
	v_fmamk_f32 v64, v28, 0xbf737871, v32
	v_fmac_f32_e32 v32, 0x3f737871, v28
	v_fmamk_f32 v65, v19, 0xbf737871, v36
	v_fmac_f32_e32 v36, 0x3f737871, v19
	v_dual_add_f32 v62, v87, v88 :: v_dual_fmac_f32 v77, -0.5, v81
	s_delay_alu instid0(VALU_DEP_4) | instskip(SKIP_4) | instid1(VALU_DEP_4)
	v_fmac_f32_e32 v32, 0xbf167918, v27
	v_fmamk_f32 v66, v58, 0x3f737871, v34
	v_fmac_f32_e32 v34, 0xbf737871, v58
	v_sub_f32_e32 v80, v22, v26
	v_fma_f32 v60, -0.5, v85, v57
	v_dual_fmac_f32 v57, -0.5, v89 :: v_dual_fmac_f32 v66, 0xbf167918, v19
	s_delay_alu instid0(VALU_DEP_4) | instskip(SKIP_4) | instid1(VALU_DEP_3)
	v_dual_add_f32 v61, v61, v90 :: v_dual_fmac_f32 v34, 0x3f167918, v19
	v_add_f32_e32 v26, v30, v26
	v_dual_fmamk_f32 v30, v78, 0xbf737871, v77 :: v_dual_add_f32 v35, v79, v80
	v_dual_fmac_f32 v64, 0x3f167918, v27 :: v_dual_add_f32 v23, v23, v25
	v_fmamk_f32 v68, v86, 0x3f737871, v57
	v_fmac_f32_e32 v30, 0x3f167918, v72
	v_fmac_f32_e32 v36, 0x3f167918, v58
	;; [unrolled: 1-line block ×4, first 2 shown]
	v_dual_add_f32 v59, v59, v69 :: v_dual_fmac_f32 v68, 0xbf167918, v20
	s_delay_alu instid0(VALU_DEP_4) | instskip(SKIP_1) | instid1(VALU_DEP_4)
	v_dual_add_f32 v21, v23, v21 :: v_dual_fmac_f32 v36, 0x3e9e377a, v31
	v_fmac_f32_e32 v57, 0xbf737871, v86
	v_fmac_f32_e32 v77, 0xbf167918, v72
	;; [unrolled: 1-line block ×7, first 2 shown]
	v_dual_mul_f32 v58, 0xbf737871, v30 :: v_dual_add_f32 v25, v29, v67
	s_delay_alu instid0(VALU_DEP_3) | instskip(NEXT) | instid1(VALU_DEP_2)
	v_dual_fmac_f32 v66, 0x3e9e377a, v18 :: v_dual_fmac_f32 v57, 0x3e9e377a, v61
	v_fmac_f32_e32 v58, 0x3e9e377a, v68
	v_fmamk_f32 v67, v20, 0xbf737871, v60
	v_fmac_f32_e32 v60, 0x3f737871, v20
	v_dual_fmac_f32 v64, 0x3e9e377a, v17 :: v_dual_add_f32 v19, v26, v22
	v_fmac_f32_e32 v32, 0x3e9e377a, v17
	s_delay_alu instid0(VALU_DEP_4) | instskip(NEXT) | instid1(VALU_DEP_4)
	v_fmac_f32_e32 v67, 0xbf167918, v86
	v_dual_fmac_f32 v60, 0x3f167918, v86 :: v_dual_add_f32 v23, v25, v71
	v_dual_fmamk_f32 v29, v72, 0x3f737871, v33 :: v_dual_add_f32 v22, v59, v73
	s_delay_alu instid0(VALU_DEP_3) | instskip(SKIP_1) | instid1(VALU_DEP_4)
	v_fmac_f32_e32 v67, 0x3e9e377a, v62
	v_fmac_f32_e32 v33, 0xbf737871, v72
	;; [unrolled: 1-line block ×3, first 2 shown]
	s_delay_alu instid0(VALU_DEP_4)
	v_fmac_f32_e32 v29, 0x3f167918, v78
	v_add_f32_e32 v18, v23, v22
	v_sub_f32_e32 v20, v23, v22
	v_fmac_f32_e32 v33, 0xbf167918, v78
	v_mul_f32_e32 v23, 0x3e9e377a, v57
	v_fmac_f32_e32 v29, 0x3e9e377a, v35
	s_delay_alu instid0(VALU_DEP_3) | instskip(NEXT) | instid1(VALU_DEP_3)
	v_fmac_f32_e32 v33, 0x3e9e377a, v35
	v_fma_f32 v59, 0xbf737871, v77, -v23
	s_delay_alu instid0(VALU_DEP_3) | instskip(SKIP_3) | instid1(VALU_DEP_4)
	v_mul_f32_e32 v56, 0xbf167918, v29
	v_fmac_f32_e32 v65, 0x3e9e377a, v31
	v_mul_f32_e32 v31, 0x3f167918, v67
	v_dual_add_f32 v17, v21, v19 :: v_dual_mul_f32 v22, 0x3f4f1bbd, v33
	v_fmac_f32_e32 v56, 0x3f4f1bbd, v67
	v_fmamk_f32 v63, v27, 0x3f737871, v91
	v_fmac_f32_e32 v91, 0xbf737871, v27
	v_fmac_f32_e32 v31, 0x3f4f1bbd, v29
	v_sub_f32_e32 v19, v21, v19
	v_mul_f32_e32 v35, 0x3f737871, v68
	v_mul_f32_e32 v21, 0x3e9e377a, v77
	v_dual_fmac_f32 v91, 0xbf167918, v28 :: v_dual_add_f32 v26, v34, v59
	s_delay_alu instid0(VALU_DEP_3) | instskip(NEXT) | instid1(VALU_DEP_3)
	v_dual_sub_f32 v34, v34, v59 :: v_dual_fmac_f32 v35, 0x3e9e377a, v30
	v_fma_f32 v30, 0x3f737871, v57, -v21
	s_delay_alu instid0(VALU_DEP_3)
	v_fmac_f32_e32 v91, 0x3e9e377a, v24
	v_fma_f32 v57, 0x3f167918, v60, -v22
	v_add_f32_e32 v22, v65, v56
	v_fmac_f32_e32 v63, 0x3f167918, v28
	v_add_f32_e32 v23, v64, v35
	v_add_f32_e32 v25, v32, v30
	;; [unrolled: 1-line block ×3, first 2 shown]
	s_delay_alu instid0(VALU_DEP_4) | instskip(NEXT) | instid1(VALU_DEP_1)
	v_fmac_f32_e32 v63, 0x3e9e377a, v24
	v_dual_mul_f32 v24, 0x3f4f1bbd, v60 :: v_dual_add_f32 v21, v63, v31
	s_delay_alu instid0(VALU_DEP_1)
	v_fma_f32 v60, 0xbf167918, v33, -v24
	v_dual_add_f32 v24, v66, v58 :: v_dual_sub_f32 v29, v63, v31
	v_sub_f32_e32 v31, v64, v35
	v_sub_f32_e32 v33, v32, v30
	;; [unrolled: 1-line block ×3, first 2 shown]
	v_add_f32_e32 v28, v36, v60
	v_dual_sub_f32 v30, v65, v56 :: v_dual_sub_f32 v35, v91, v57
	v_sub_f32_e32 v36, v36, v60
	ds_store_2addr_b64 v74, v[17:18], v[21:22] offset1:54
	ds_store_2addr_b64 v74, v[23:24], v[25:26] offset0:108 offset1:162
	ds_store_2addr_b64 v75, v[27:28], v[19:20] offset0:88 offset1:142
	;; [unrolled: 1-line block ×4, first 2 shown]
	s_and_saveexec_b32 s2, vcc_lo
	s_cbranch_execz .LBB0_34
; %bb.33:
	v_mul_lo_u16 v17, v45, 43
	s_delay_alu instid0(VALU_DEP_1) | instskip(NEXT) | instid1(VALU_DEP_1)
	v_lshrrev_b16 v17, 8, v17
	v_mul_lo_u16 v17, v17, 6
	s_delay_alu instid0(VALU_DEP_1) | instskip(NEXT) | instid1(VALU_DEP_1)
	v_sub_nc_u16 v17, v45, v17
	v_mul_lo_u16 v17, v17, 9
	s_delay_alu instid0(VALU_DEP_1) | instskip(NEXT) | instid1(VALU_DEP_1)
	v_and_b32_e32 v17, 0xff, v17
	v_lshlrev_b32_e32 v35, 3, v17
	s_clause 0x4
	global_load_b128 v[17:20], v35, s[10:11] offset:32
	global_load_b128 v[21:24], v35, s[10:11] offset:48
	;; [unrolled: 1-line block ×4, first 2 shown]
	global_load_b64 v[33:34], v35, s[10:11] offset:96
	s_wait_loadcnt 0x4
	v_mul_f32_e32 v57, v3, v20
	v_mul_f32_e32 v20, v4, v20
	s_wait_loadcnt 0x2
	v_mul_f32_e32 v59, v7, v28
	s_wait_loadcnt 0x0
	v_dual_mul_f32 v60, v11, v32 :: v_dual_mul_f32 v63, v42, v34
	v_add3_u32 v35, 0, v35, v53
	v_dual_mul_f32 v28, v8, v28 :: v_dual_mul_f32 v65, v2, v18
	v_dual_mul_f32 v32, v12, v32 :: v_dual_mul_f32 v61, v14, v22
	s_delay_alu instid0(VALU_DEP_3)
	v_add_nc_u32_e32 v36, 0x3000, v35
	v_add_nc_u32_e32 v56, 0x3800, v35
	v_dual_mul_f32 v62, v10, v30 :: v_dual_fmac_f32 v57, v4, v19
	v_fma_f32 v3, v3, v19, -v20
	v_fma_f32 v7, v7, v27, -v28
	v_dual_mul_f32 v22, v13, v22 :: v_dual_add_nc_u32 v35, 0x4000, v35
	v_mul_f32_e32 v58, v15, v24
	v_mul_f32_e32 v24, v16, v24
	v_dual_mul_f32 v64, v6, v26 :: v_dual_fmac_f32 v59, v8, v27
	v_fma_f32 v8, v11, v31, -v32
	v_fma_f32 v11, v13, v21, -v61
	v_dual_sub_f32 v13, v3, v7 :: v_dual_fmac_f32 v22, v14, v21
	v_fmac_f32_e32 v60, v12, v31
	v_fma_f32 v12, v41, v33, -v63
	v_mul_f32_e32 v30, v9, v30
	v_fma_f32 v9, v9, v29, -v62
	v_mul_f32_e32 v34, v41, v34
	v_fma_f32 v4, v15, v23, -v24
	v_add_f32_e32 v31, v57, v59
	v_dual_mul_f32 v18, v1, v18 :: v_dual_add_f32 v41, v11, v12
	v_sub_f32_e32 v15, v11, v9
	v_fmac_f32_e32 v34, v42, v33
	v_fma_f32 v1, v1, v17, -v65
	s_delay_alu instid0(VALU_DEP_4) | instskip(SKIP_1) | instid1(VALU_DEP_4)
	v_dual_fmac_f32 v18, v2, v17 :: v_dual_sub_f32 v69, v8, v7
	v_add_f32_e32 v63, v40, v57
	v_sub_f32_e32 v19, v22, v34
	v_mul_f32_e32 v26, v5, v26
	v_fma_f32 v5, v5, v25, -v64
	v_dual_fmac_f32 v58, v16, v23 :: v_dual_sub_f32 v65, v7, v8
	v_sub_f32_e32 v68, v4, v3
	s_delay_alu instid0(VALU_DEP_4) | instskip(SKIP_4) | instid1(VALU_DEP_4)
	v_dual_fmac_f32 v26, v6, v25 :: v_dual_sub_f32 v25, v11, v12
	v_fmac_f32_e32 v30, v10, v29
	v_dual_sub_f32 v6, v59, v60 :: v_dual_add_f32 v17, v9, v5
	v_sub_f32_e32 v2, v57, v58
	v_add_f32_e32 v14, v58, v60
	v_sub_f32_e32 v21, v22, v30
	v_dual_sub_f32 v28, v58, v57 :: v_dual_sub_f32 v33, v5, v12
	v_dual_sub_f32 v57, v57, v59 :: v_dual_sub_f32 v10, v4, v8
	v_dual_sub_f32 v23, v34, v26 :: v_dual_sub_f32 v16, v12, v5
	v_add_f32_e32 v27, v30, v26
	v_sub_f32_e32 v20, v30, v26
	v_dual_sub_f32 v24, v9, v5 :: v_dual_sub_f32 v61, v26, v34
	v_sub_f32_e32 v29, v60, v59
	v_dual_sub_f32 v32, v9, v11 :: v_dual_sub_f32 v67, v58, v60
	v_add_f32_e32 v62, v22, v34
	v_add_f32_e32 v70, v3, v7
	v_dual_add_f32 v11, v1, v11 :: v_dual_add_f32 v2, v2, v6
	v_dual_add_f32 v6, v15, v16 :: v_dual_add_f32 v15, v21, v23
	v_sub_f32_e32 v42, v30, v22
	v_sub_f32_e32 v64, v3, v4
	v_add_f32_e32 v3, v39, v3
	v_fma_f32 v71, -0.5, v14, v40
	v_add_f32_e32 v66, v4, v8
	v_fma_f32 v14, -0.5, v17, v1
	v_fma_f32 v16, -0.5, v27, v18
	v_add_f32_e32 v17, v28, v29
	v_fma_f32 v21, -0.5, v31, v40
	v_add_f32_e32 v23, v32, v33
	v_fma_f32 v27, -0.5, v41, v1
	v_add_f32_e32 v1, v42, v61
	v_dual_add_f32 v22, v18, v22 :: v_dual_add_f32 v29, v64, v65
	v_fma_f32 v18, -0.5, v62, v18
	v_add_f32_e32 v28, v63, v58
	v_add_f32_e32 v3, v3, v4
	v_dual_add_f32 v4, v11, v9 :: v_dual_fmamk_f32 v11, v13, 0x3f737871, v71
	s_delay_alu instid0(VALU_DEP_4)
	v_dual_add_f32 v22, v22, v30 :: v_dual_fmamk_f32 v41, v24, 0xbf737871, v18
	v_fma_f32 v30, -0.5, v66, v39
	v_add_f32_e32 v31, v68, v69
	v_fma_f32 v32, -0.5, v70, v39
	v_fmamk_f32 v9, v19, 0xbf737871, v14
	v_fmamk_f32 v33, v25, 0x3f737871, v16
	;; [unrolled: 1-line block ×3, first 2 shown]
	v_dual_fmamk_f32 v40, v20, 0x3f737871, v27 :: v_dual_add_f32 v3, v3, v8
	v_fmac_f32_e32 v21, 0x3f737871, v10
	v_dual_fmac_f32 v71, 0xbf737871, v13 :: v_dual_add_f32 v28, v28, v60
	v_fmac_f32_e32 v18, 0x3f737871, v24
	v_dual_add_f32 v4, v4, v5 :: v_dual_fmac_f32 v11, 0x3f167918, v10
	v_fmac_f32_e32 v14, 0x3f737871, v19
	v_dual_fmac_f32 v27, 0xbf737871, v20 :: v_dual_fmac_f32 v16, 0xbf737871, v25
	v_dual_add_f32 v22, v22, v26 :: v_dual_fmac_f32 v9, 0xbf167918, v20
	v_dual_fmamk_f32 v26, v57, 0xbf737871, v30 :: v_dual_add_f32 v3, v3, v7
	s_delay_alu instid0(VALU_DEP_2)
	v_dual_fmac_f32 v33, 0x3f167918, v24 :: v_dual_add_f32 v8, v22, v34
	v_dual_fmac_f32 v40, 0xbf167918, v19 :: v_dual_fmac_f32 v21, 0xbf167918, v13
	v_dual_add_f32 v5, v28, v59 :: v_dual_fmac_f32 v18, 0xbf167918, v25
	v_fmac_f32_e32 v71, 0xbf167918, v10
	v_add_f32_e32 v7, v4, v12
	v_dual_fmac_f32 v39, 0x3f167918, v13 :: v_dual_fmac_f32 v14, 0x3f167918, v20
	v_fmac_f32_e32 v30, 0x3f737871, v57
	v_fmac_f32_e32 v41, 0x3f167918, v25
	;; [unrolled: 1-line block ×3, first 2 shown]
	v_dual_fmac_f32 v11, 0x3e9e377a, v2 :: v_dual_fmac_f32 v40, 0x3e9e377a, v23
	v_dual_fmac_f32 v9, 0x3e9e377a, v6 :: v_dual_fmac_f32 v18, 0x3e9e377a, v1
	v_fmamk_f32 v42, v67, 0x3f737871, v32
	v_dual_fmac_f32 v33, 0x3e9e377a, v15 :: v_dual_fmac_f32 v14, 0x3e9e377a, v6
	v_fmac_f32_e32 v26, 0xbf167918, v67
	v_fmac_f32_e32 v41, 0x3e9e377a, v1
	;; [unrolled: 1-line block ×3, first 2 shown]
	v_dual_sub_f32 v1, v3, v7 :: v_dual_add_f32 v4, v5, v8
	v_add_f32_e32 v3, v3, v7
	v_dual_fmac_f32 v39, 0x3e9e377a, v17 :: v_dual_fmac_f32 v16, 0x3e9e377a, v15
	v_mul_f32_e32 v13, 0xbf167918, v14
	v_dual_fmac_f32 v71, 0x3e9e377a, v2 :: v_dual_fmac_f32 v26, 0x3e9e377a, v29
	v_dual_sub_f32 v2, v5, v8 :: v_dual_mul_f32 v5, 0x3f4f1bbd, v33
	v_mul_f32_e32 v10, 0x3e9e377a, v40
	v_mul_f32_e32 v17, 0x3f737871, v18
	v_fmac_f32_e32 v42, 0xbf167918, v57
	v_mul_f32_e32 v6, 0x3e9e377a, v41
	v_mul_f32_e32 v22, 0x3f167918, v16
	v_fma_f32 v15, 0xbf167918, v9, -v5
	v_fma_f32 v24, 0x3f737871, v41, -v10
	v_fmac_f32_e32 v42, 0x3e9e377a, v31
	v_fmac_f32_e32 v32, 0xbf737871, v67
	;; [unrolled: 1-line block ×4, first 2 shown]
	v_fma_f32 v19, 0xbf737871, v40, -v6
	v_fmac_f32_e32 v22, 0x3f4f1bbd, v14
	v_sub_f32_e32 v6, v11, v15
	v_dual_add_f32 v14, v11, v15 :: v_dual_add_f32 v15, v42, v24
	v_fmac_f32_e32 v32, 0x3f167918, v57
	v_dual_fmac_f32 v27, 0x3e9e377a, v23 :: v_dual_fmac_f32 v30, 0x3e9e377a, v29
	v_dual_mul_f32 v8, 0x3f4f1bbd, v9 :: v_dual_fmac_f32 v13, 0x3f4f1bbd, v16
	v_add_f32_e32 v16, v39, v19
	s_delay_alu instid0(VALU_DEP_3) | instskip(SKIP_1) | instid1(VALU_DEP_4)
	v_mul_f32_e32 v7, 0xbf737871, v27
	v_fmac_f32_e32 v17, 0x3e9e377a, v27
	v_fma_f32 v23, 0x3f167918, v33, -v8
	v_sub_f32_e32 v12, v71, v13
	s_delay_alu instid0(VALU_DEP_4) | instskip(NEXT) | instid1(VALU_DEP_3)
	v_dual_fmac_f32 v32, 0x3e9e377a, v31 :: v_dual_fmac_f32 v7, 0x3e9e377a, v18
	v_dual_add_f32 v20, v71, v13 :: v_dual_add_f32 v13, v26, v23
	v_dual_sub_f32 v8, v39, v19 :: v_dual_sub_f32 v11, v30, v22
	v_add_f32_e32 v19, v30, v22
	s_delay_alu instid0(VALU_DEP_4)
	v_dual_sub_f32 v9, v32, v17 :: v_dual_add_f32 v18, v21, v7
	v_dual_add_f32 v17, v32, v17 :: v_dual_sub_f32 v10, v21, v7
	v_sub_f32_e32 v7, v42, v24
	v_sub_f32_e32 v5, v26, v23
	ds_store_2addr_b64 v36, v[3:4], v[19:20] offset0:84 offset1:138
	ds_store_2addr_b64 v36, v[17:18], v[15:16] offset0:192 offset1:246
	;; [unrolled: 1-line block ×5, first 2 shown]
.LBB0_34:
	s_wait_alu 0xfffe
	s_or_b32 exec_lo, exec_lo, s2
	v_subrev_nc_u32_e32 v7, 60, v43
	v_cmp_gt_u32_e32 vcc_lo, 0x21c, v0
	v_mul_lo_u16 v5, 0x45, v45
	v_mul_lo_u16 v6, 0x89, v47
	v_mov_b32_e32 v2, 0
	v_mul_lo_u16 v8, 0x89, v48
	s_wait_alu 0xfffd
	v_cndmask_b32_e32 v1, v7, v43, vcc_lo
	v_lshrrev_b16 v36, 12, v5
	v_lshrrev_b16 v60, 13, v6
	v_mul_lo_u16 v5, 0x89, v49
	v_lshrrev_b16 v61, 13, v8
	v_lshlrev_b64_e32 v[3:4], 3, v[1:2]
	v_mul_lo_u16 v9, v36, 60
	v_mul_lo_u16 v8, v60, 60
	v_mul_lo_u16 v6, 0x89, v46
	v_lshrrev_b16 v62, 13, v5
	global_wb scope:SCOPE_SE
	s_wait_dscnt 0x0
	v_add_co_u32 v3, s2, s10, v3
	s_wait_alu 0xf1ff
	v_add_co_ci_u32_e64 v4, s2, s11, v4, s2
	v_sub_nc_u16 v5, v45, v9
	v_sub_nc_u16 v8, v47, v8
	v_lshrrev_b16 v63, 13, v6
	s_barrier_signal -1
	s_barrier_wait -1
	global_inv scope:SCOPE_SE
	v_mul_lo_u16 v6, v61, 60
	global_load_b64 v[20:21], v[3:4], off offset:464
	v_and_b32_e32 v64, 0xff, v5
	v_and_b32_e32 v65, 0xff, v8
	v_mul_lo_u16 v9, v62, 60
	v_mul_lo_u16 v10, v63, 60
	v_sub_nc_u16 v5, v48, v6
	v_lshlrev_b32_e32 v3, 3, v64
	v_lshlrev_b32_e32 v4, 3, v65
	v_sub_nc_u16 v6, v49, v9
	v_sub_nc_u16 v8, v46, v10
	v_cmp_lt_u32_e64 s2, 0x21b, v0
	s_clause 0x1
	global_load_b64 v[22:23], v3, s[10:11] offset:464
	global_load_b64 v[24:25], v4, s[10:11] offset:464
	v_and_b32_e32 v66, 0xff, v5
	v_and_b32_e32 v67, 0xff, v6
	;; [unrolled: 1-line block ×3, first 2 shown]
	s_wait_alu 0xf1ff
	v_cndmask_b32_e64 v12, 0, 0x78, s2
	v_lshlrev_b32_e32 v5, 3, v66
	v_lshlrev_b32_e32 v3, 3, v67
	;; [unrolled: 1-line block ×3, first 2 shown]
	s_clause 0x2
	global_load_b64 v[26:27], v5, s[10:11] offset:464
	global_load_b64 v[28:29], v3, s[10:11] offset:464
	;; [unrolled: 1-line block ×3, first 2 shown]
	ds_load_b64 v[32:33], v50
	ds_load_b64 v[34:35], v51
	ds_load_b32 v69, v51 offset:4
	ds_load_b32 v70, v54
	ds_load_b64 v[39:40], v54
	v_add_nc_u32_e32 v3, 0x2000, v50
	v_mul_u32_u24_e32 v5, 0x48, v46
	ds_load_b32 v71, v54 offset:4
	ds_load_b32 v72, v55
	ds_load_b64 v[41:42], v55
	ds_load_b32 v73, v55 offset:4
	ds_load_b32 v74, v52
	ds_load_b64 v[56:57], v52
	ds_load_b32 v75, v51
	ds_load_b32 v76, v52 offset:4
	v_add_nc_u32_e32 v4, 0x2c00, v50
	ds_load_2addr_b64 v[8:11], v3 offset0:56 offset1:236
	v_add_nc_u32_e32 v6, 0x3800, v50
	v_add3_u32 v5, 0, v5, v53
	v_add_nc_u32_e32 v1, v1, v12
	ds_load_2addr_b64 v[12:15], v4 offset0:32 offset1:212
	ds_load_2addr_b64 v[16:19], v6 offset0:8 offset1:188
	ds_load_b64 v[58:59], v5
	v_and_b32_e32 v36, 0xffff, v36
	v_and_b32_e32 v60, 0xffff, v60
	;; [unrolled: 1-line block ×3, first 2 shown]
	v_mul_i32_i24_e32 v1, 0x48, v1
	global_wb scope:SCOPE_SE
	s_wait_loadcnt_dscnt 0x0
	v_mad_u32_u24 v36, 0x78, v36, v64
	s_barrier_signal -1
	s_barrier_wait -1
	v_add3_u32 v1, 0, v1, v53
	global_inv scope:SCOPE_SE
	v_mul_u32_u24_e32 v36, 0x48, v36
	s_delay_alu instid0(VALU_DEP_1) | instskip(SKIP_2) | instid1(VALU_DEP_2)
	v_add3_u32 v36, 0, v36, v53
	v_mul_f32_e32 v64, v21, v9
	v_mul_f32_e32 v21, v21, v8
	v_fma_f32 v8, v20, v8, -v64
	s_delay_alu instid0(VALU_DEP_2) | instskip(SKIP_1) | instid1(VALU_DEP_2)
	v_dual_fmac_f32 v21, v20, v9 :: v_dual_and_b32 v62, 0xffff, v62
	v_mad_u32_u24 v63, 0x78, v63, v68
	v_dual_sub_f32 v8, v32, v8 :: v_dual_sub_f32 v9, v33, v21
	v_mul_f32_e32 v20, v23, v11
	v_mul_f32_e32 v23, v23, v10
	s_delay_alu instid0(VALU_DEP_4) | instskip(NEXT) | instid1(VALU_DEP_3)
	v_mul_u32_u24_e32 v63, 0x48, v63
	v_fma_f32 v20, v22, v10, -v20
	s_delay_alu instid0(VALU_DEP_3)
	v_fmac_f32_e32 v23, v22, v11
	v_fma_f32 v10, v32, 2.0, -v8
	v_fma_f32 v11, v33, 2.0, -v9
	v_mul_f32_e32 v64, v27, v15
	v_mad_u32_u24 v62, 0x78, v62, v67
	v_mul_f32_e32 v27, v27, v14
	ds_store_b64 v1, v[10:11]
	ds_store_b64 v1, v[8:9] offset:4320
	v_fma_f32 v22, v26, v14, -v64
	v_and_b32_e32 v61, 0xffff, v61
	v_mul_u32_u24_e32 v62, 0x48, v62
	v_fmac_f32_e32 v27, v26, v15
	s_delay_alu instid0(VALU_DEP_3)
	v_mad_u32_u24 v61, 0x78, v61, v66
	v_mul_f32_e32 v66, v19, v31
	v_mul_f32_e32 v31, v18, v31
	v_mad_u32_u24 v60, 0x78, v60, v65
	v_add3_u32 v62, 0, v62, v53
	v_mul_u32_u24_e32 v61, 0x48, v61
	v_mul_f32_e32 v65, v29, v17
	v_mul_f32_e32 v29, v29, v16
	v_mul_u32_u24_e32 v60, 0x48, v60
	v_fma_f32 v26, v18, v30, -v66
	v_add3_u32 v61, 0, v61, v53
	v_fmac_f32_e32 v31, v19, v30
	v_fmac_f32_e32 v29, v28, v17
	v_add3_u32 v60, 0, v60, v53
	v_add3_u32 v53, 0, v63, v53
	v_mul_f32_e32 v63, v25, v13
	v_mul_f32_e32 v25, v25, v12
	v_sub_f32_e32 v17, v42, v27
	v_sub_f32_e32 v19, v57, v29
	s_delay_alu instid0(VALU_DEP_4) | instskip(NEXT) | instid1(VALU_DEP_4)
	v_fma_f32 v21, v24, v12, -v63
	v_fmac_f32_e32 v25, v24, v13
	v_fma_f32 v24, v28, v16, -v65
	v_sub_f32_e32 v12, v34, v20
	v_dual_sub_f32 v20, v58, v26 :: v_dual_sub_f32 v13, v35, v23
	v_sub_f32_e32 v14, v39, v21
	v_dual_sub_f32 v15, v40, v25 :: v_dual_sub_f32 v16, v41, v22
	v_dual_sub_f32 v18, v56, v24 :: v_dual_sub_f32 v21, v59, v31
	v_fma_f32 v8, v75, 2.0, -v12
	v_fma_f32 v9, v69, 2.0, -v13
	;; [unrolled: 1-line block ×10, first 2 shown]
	ds_store_b64 v36, v[8:9]
	ds_store_b64 v36, v[12:13] offset:4320
	ds_store_b64 v60, v[10:11]
	ds_store_b64 v60, v[14:15] offset:4320
	ds_store_b64 v61, v[22:23]
	ds_store_b64 v61, v[16:17] offset:4320
	ds_store_b64 v62, v[24:25]
	ds_store_b64 v62, v[18:19] offset:4320
	ds_store_b64 v53, v[26:27]
	ds_store_b64 v53, v[20:21] offset:4320
	global_wb scope:SCOPE_SE
	s_wait_dscnt 0x0
	s_barrier_signal -1
	s_barrier_wait -1
	global_inv scope:SCOPE_SE
	s_and_saveexec_b32 s2, s3
	s_cbranch_execz .LBB0_36
; %bb.35:
	v_subrev_nc_u32_e32 v1, 20, v43
	v_cmp_gt_u32_e64 s2, 0xb4, v0
	v_subrev_nc_u32_e32 v8, 40, v43
	v_dual_mov_b32 v11, v2 :: v_dual_mov_b32 v16, v2
	v_mov_b32_e32 v17, v2
	s_wait_alu 0xf1fe
	v_cndmask_b32_e64 v1, v1, v46, s2
	v_cmp_gt_u32_e64 s2, 0x168, v0
	s_load_b64 s[0:1], s[0:1], 0x8
	v_mov_b32_e32 v22, v2
	s_delay_alu instid0(VALU_DEP_3) | instskip(NEXT) | instid1(VALU_DEP_3)
	v_mul_lo_u32 v41, v38, v1
	v_cndmask_b32_e64 v10, v8, v49, s2
	v_lshlrev_b64_e32 v[8:9], 3, v[1:2]
	s_delay_alu instid0(VALU_DEP_2) | instskip(SKIP_1) | instid1(VALU_DEP_3)
	v_lshlrev_b64_e32 v[11:12], 3, v[10:11]
	v_mul_lo_u32 v53, v38, v10
	v_add_co_u32 v8, s2, s10, v8
	s_wait_alu 0xf1ff
	s_delay_alu instid0(VALU_DEP_4) | instskip(NEXT) | instid1(VALU_DEP_4)
	v_add_co_ci_u32_e64 v9, s2, s11, v9, s2
	v_add_co_u32 v11, s2, s10, v11
	s_wait_alu 0xf1ff
	v_add_co_ci_u32_e64 v12, s2, s11, v12, s2
	s_clause 0x1
	global_load_b64 v[13:14], v[8:9], off offset:944
	global_load_b64 v[11:12], v[11:12], off offset:944
	v_add_nc_u32_e32 v9, 0xffffffb0, v43
	v_cndmask_b32_e32 v15, v7, v48, vcc_lo
	v_cmp_gt_u32_e32 vcc_lo, 0x2d0, v0
	s_delay_alu instid0(VALU_DEP_2) | instskip(SKIP_2) | instid1(VALU_DEP_2)
	v_lshlrev_b64_e32 v[7:8], 3, v[15:16]
	s_wait_alu 0xfffd
	v_cndmask_b32_e32 v16, v9, v47, vcc_lo
	v_add_co_u32 v7, vcc_lo, s10, v7
	s_delay_alu instid0(VALU_DEP_2)
	v_lshlrev_b64_e32 v[17:18], 3, v[16:17]
	s_wait_alu 0xfffd
	v_add_co_ci_u32_e32 v8, vcc_lo, s11, v8, vcc_lo
	v_mul_lo_u32 v57, v38, v16
	global_load_b64 v[19:20], v[7:8], off offset:944
	v_add_co_u32 v7, vcc_lo, s10, v17
	s_wait_alu 0xfffd
	v_add_co_ci_u32_e32 v8, vcc_lo, s11, v18, vcc_lo
	v_cmp_gt_u32_e32 vcc_lo, 0x384, v0
	v_lshlrev_b32_e32 v0, 3, v43
	v_add_nc_u32_e32 v9, 0x78, v15
	global_load_b64 v[17:18], v[7:8], off offset:944
	v_add_nc_u32_e32 v7, 0xffffff9c, v43
	v_lshrrev_b32_e32 v64, 5, v57
	v_mul_lo_u32 v9, v38, v9
	s_wait_alu 0xfffd
	s_delay_alu instid0(VALU_DEP_3) | instskip(NEXT) | instid1(VALU_DEP_1)
	v_cndmask_b32_e32 v21, v7, v45, vcc_lo
	v_lshlrev_b64_e32 v[7:8], 3, v[21:22]
	global_load_b64 v[22:23], v0, s[10:11] offset:944
	v_mul_lo_u32 v0, v38, v44
	v_add_co_u32 v7, vcc_lo, s10, v7
	s_wait_alu 0xfffd
	v_add_co_ci_u32_e32 v8, vcc_lo, s11, v8, vcc_lo
	global_load_b64 v[24:25], v[7:8], off offset:944
	v_and_b32_e32 v8, 0xff, v0
	v_mul_lo_u32 v7, v38, v43
	v_lshrrev_b32_e32 v0, 5, v0
	v_mul_lo_u32 v59, v38, v21
	v_add_nc_u32_e32 v58, 0x78, v21
	v_lshlrev_b32_e32 v8, 3, v8
	s_delay_alu instid0(VALU_DEP_4)
	v_and_b32_e32 v0, 0x7f8, v0
	s_wait_kmcnt 0x0
	s_clause 0x1
	global_load_b64 v[26:27], v8, s[0:1]
	global_load_b64 v[28:29], v0, s[0:1] offset:2048
	v_and_b32_e32 v30, 0xff, v7
	v_lshrrev_b32_e32 v7, 5, v7
	v_and_b32_e32 v8, 0xff, v9
	v_lshrrev_b32_e32 v9, 5, v9
	v_add_nc_u32_e32 v36, 0x78, v1
	v_lshlrev_b32_e32 v0, 3, v30
	v_and_b32_e32 v7, 0x7f8, v7
	s_clause 0x1
	global_load_b64 v[30:31], v0, s[0:1]
	global_load_b64 v[32:33], v7, s[0:1] offset:2048
	v_lshlrev_b32_e32 v0, 3, v8
	v_and_b32_e32 v7, 0x7f8, v9
	s_clause 0x1
	global_load_b64 v[34:35], v0, s[0:1]
	global_load_b64 v[39:40], v7, s[0:1] offset:2048
	ds_load_2addr_b64 v[6:9], v6 offset0:8 offset1:188
	v_mul_lo_u32 v0, v38, v15
	v_add_nc_u32_e32 v42, 0x78, v10
	v_add_nc_u32_e32 v56, 0x78, v16
	v_mul_lo_u32 v36, v38, v36
	v_and_b32_e32 v63, 0xff, v57
	v_lshrrev_b32_e32 v66, 5, v59
	v_mul_lo_u32 v61, v38, v42
	v_mul_lo_u32 v62, v38, v56
	v_and_b32_e32 v60, 0xff, v0
	v_lshrrev_b32_e32 v0, 5, v0
	v_and_b32_e32 v42, 0xff, v41
	v_lshrrev_b32_e32 v41, 5, v41
	v_mul_lo_u32 v38, v38, v58
	v_lshlrev_b32_e32 v56, 3, v60
	v_and_b32_e32 v0, 0x7f8, v0
	v_lshlrev_b32_e32 v67, 3, v42
	v_and_b32_e32 v68, 0x7f8, v41
	s_clause 0x1
	global_load_b64 v[41:42], v56, s[0:1]
	global_load_b64 v[56:57], v0, s[0:1] offset:2048
	v_and_b32_e32 v58, 0xff, v53
	v_lshrrev_b32_e32 v53, 5, v53
	v_and_b32_e32 v69, 0xff, v61
	v_lshrrev_b32_e32 v70, 5, v61
	v_and_b32_e32 v86, 0x7f8, v66
	v_lshlrev_b32_e32 v71, 3, v58
	v_lshlrev_b32_e32 v78, 3, v63
	;; [unrolled: 1-line block ×3, first 2 shown]
	v_and_b32_e32 v69, 0x7f8, v70
	v_sub_nc_u32_e32 v16, v47, v16
	s_wait_loadcnt_dscnt 0xd00
	v_dual_mul_f32 v88, v8, v14 :: v_dual_and_b32 v65, 0xff, v59
	v_and_b32_e32 v59, 0xff, v36
	v_lshrrev_b32_e32 v36, 5, v36
	s_wait_loadcnt 0xc
	s_delay_alu instid0(VALU_DEP_3)
	v_dual_mul_f32 v89, v12, v6 :: v_dual_fmac_f32 v88, v9, v13
	v_lshlrev_b32_e32 v84, 3, v65
	v_lshlrev_b32_e32 v0, 3, v59
	v_and_b32_e32 v36, 0x7f8, v36
	s_clause 0x1
	global_load_b64 v[58:59], v0, s[0:1]
	global_load_b64 v[60:61], v36, s[0:1] offset:2048
	v_and_b32_e32 v0, 0x7f8, v53
	v_and_b32_e32 v36, 0xff, v62
	v_lshrrev_b32_e32 v53, 5, v62
	v_and_b32_e32 v62, 0xff, v38
	v_lshrrev_b32_e32 v38, 5, v38
	v_dual_fmac_f32 v89, v11, v7 :: v_dual_and_b32 v80, 0x7f8, v64
	s_delay_alu instid0(VALU_DEP_4) | instskip(NEXT) | instid1(VALU_DEP_4)
	v_and_b32_e32 v53, 0x7f8, v53
	v_lshlrev_b32_e32 v82, 3, v62
	s_clause 0x5
	global_load_b64 v[62:63], v67, s[0:1]
	global_load_b64 v[64:65], v68, s[0:1] offset:2048
	global_load_b64 v[66:67], v66, s[0:1]
	global_load_b64 v[68:69], v69, s[0:1] offset:2048
	;; [unrolled: 2-line block ×3, first 2 shown]
	v_lshlrev_b32_e32 v36, 3, v36
	v_mul_f32_e32 v0, v9, v14
	v_and_b32_e32 v38, 0x7f8, v38
	s_clause 0x3
	global_load_b64 v[74:75], v36, s[0:1]
	global_load_b64 v[76:77], v53, s[0:1] offset:2048
	global_load_b64 v[78:79], v78, s[0:1]
	global_load_b64 v[80:81], v80, s[0:1] offset:2048
	v_mul_f32_e32 v14, v12, v7
	v_fma_f32 v53, v8, v13, -v0
	s_clause 0x3
	global_load_b64 v[12:13], v82, s[0:1]
	global_load_b64 v[82:83], v38, s[0:1] offset:2048
	global_load_b64 v[84:85], v84, s[0:1]
	global_load_b64 v[86:87], v86, s[0:1] offset:2048
	v_add_nc_u32_e32 v16, v16, v47
	v_fma_f32 v38, v11, v6, -v14
	ds_load_2addr_b64 v[6:9], v4 offset0:32 offset1:212
	v_sub_nc_u32_e32 v11, v45, v21
	s_wait_loadcnt_dscnt 0x1b00
	v_mul_f32_e32 v0, v20, v9
	v_mul_f32_e32 v90, v20, v8
	s_wait_loadcnt 0x1a
	v_mul_f32_e32 v92, v18, v6
	s_delay_alu instid0(VALU_DEP_3) | instskip(SKIP_2) | instid1(VALU_DEP_4)
	v_fma_f32 v91, v19, v8, -v0
	v_mul_f32_e32 v0, v18, v7
	v_fmac_f32_e32 v90, v19, v9
	v_fmac_f32_e32 v92, v17, v7
	s_delay_alu instid0(VALU_DEP_3)
	v_fma_f32 v93, v17, v6, -v0
	ds_load_2addr_b64 v[6:9], v3 offset0:56 offset1:236
	ds_load_b64 v[3:4], v5
	ds_load_b64 v[17:18], v52
	;; [unrolled: 1-line block ×3, first 2 shown]
	v_add_nc_u32_e32 v0, s6, v37
	v_sub_nc_u32_e32 v5, v48, v15
	ds_load_b64 v[36:37], v51
	ds_load_b64 v[14:15], v54
	v_sub_nc_u32_e32 v54, v49, v10
	v_mad_co_u64_u32 v[51:52], null, s8, v43, v[0:1]
	v_add_nc_u32_e32 v48, v5, v48
	v_mov_b32_e32 v52, v2
	v_mad_co_u64_u32 v[43:44], null, s8, v44, v[0:1]
	v_dual_mov_b32 v44, v2 :: v_dual_add_nc_u32 v45, v11, v45
	s_delay_alu instid0(VALU_DEP_3)
	v_lshlrev_b64_e32 v[10:11], 3, v[51:52]
	s_wait_loadcnt_dscnt 0x1805
	v_dual_mul_f32 v94, v25, v8 :: v_dual_mul_f32 v5, v23, v7
	v_mul_f32_e32 v55, v23, v6
	s_wait_dscnt 0x2
	v_dual_sub_f32 v52, v20, v90 :: v_dual_sub_f32 v53, v3, v53
	s_delay_alu instid0(VALU_DEP_3)
	v_fmac_f32_e32 v94, v24, v9
	v_fma_f32 v47, v22, v6, -v5
	ds_load_b64 v[5:6], v50
	v_fmac_f32_e32 v55, v22, v7
	v_mul_f32_e32 v7, v25, v9
	v_add_co_u32 v9, vcc_lo, s4, v10
	v_lshlrev_b64_e32 v[21:22], 3, v[43:44]
	v_add_nc_u32_e32 v44, 0x78, v48
	s_delay_alu instid0(VALU_DEP_4)
	v_fma_f32 v43, v24, v8, -v7
	v_mad_co_u64_u32 v[23:24], null, s8, v45, v[0:1]
	v_mad_co_u64_u32 v[7:8], null, s8, v48, v[0:1]
	v_add_nc_u32_e32 v48, v54, v49
	s_wait_alu 0xfffd
	v_add_co_ci_u32_e32 v10, vcc_lo, s5, v11, vcc_lo
	s_wait_loadcnt 0x16
	v_mul_f32_e32 v11, v27, v29
	v_mul_f32_e32 v49, v26, v29
	s_wait_loadcnt 0x14
	v_mul_f32_e32 v24, v31, v33
	v_fma_f32 v20, v20, 2.0, -v52
	v_mul_f32_e32 v50, v30, v33
	v_fma_f32 v11, v26, v28, -v11
	v_fmac_f32_e32 v49, v27, v28
	v_mad_co_u64_u32 v[27:28], null, s8, v44, v[0:1]
	v_fma_f32 v44, v30, v32, -v24
	v_mad_co_u64_u32 v[29:30], null, s8, v48, v[0:1]
	s_wait_loadcnt 0x12
	v_mul_f32_e32 v30, v35, v40
	v_mul_f32_e32 v40, v34, v40
	v_mad_co_u64_u32 v[25:26], null, s8, v16, v[0:1]
	v_dual_mov_b32 v8, v2 :: v_dual_add_nc_u32 v45, 0x78, v45
	s_delay_alu instid0(VALU_DEP_4)
	v_fma_f32 v51, v34, v39, -v30
	s_wait_dscnt 0x0
	v_sub_f32_e32 v34, v5, v47
	s_wait_loadcnt 0x10
	v_dual_mul_f32 v47, v41, v57 :: v_dual_fmac_f32 v50, v32, v31
	v_mov_b32_e32 v28, v2
	v_fmac_f32_e32 v40, v35, v39
	v_mad_co_u64_u32 v[30:31], null, s8, v45, v[0:1]
	s_delay_alu instid0(VALU_DEP_4)
	v_fmac_f32_e32 v47, v42, v56
	v_add_nc_u32_e32 v16, 0x78, v16
	v_fma_f32 v45, v5, 2.0, -v34
	v_mul_f32_e32 v35, v42, v57
	v_sub_f32_e32 v43, v36, v43
	v_sub_f32_e32 v57, v18, v89
	v_mad_co_u64_u32 v[32:33], null, s8, v16, v[0:1]
	v_sub_f32_e32 v16, v6, v55
	s_delay_alu instid0(VALU_DEP_4)
	v_fma_f32 v36, v36, 2.0, -v43
	v_sub_nc_u32_e32 v1, v46, v1
	v_fma_f32 v41, v41, v56, -v35
	v_add_co_u32 v21, vcc_lo, s4, v21
	v_fma_f32 v39, v6, 2.0, -v16
	v_lshlrev_b64_e32 v[5:6], 3, v[27:28]
	s_wait_alu 0xfffd
	v_add_co_ci_u32_e32 v22, vcc_lo, s5, v22, vcc_lo
	v_lshlrev_b64_e32 v[7:8], 3, v[7:8]
	v_mov_b32_e32 v31, v2
	v_mov_b32_e32 v33, v2
	v_fma_f32 v18, v18, 2.0, -v57
	s_delay_alu instid0(VALU_DEP_4)
	v_add_co_u32 v7, vcc_lo, s4, v7
	s_wait_alu 0xfffd
	v_add_co_ci_u32_e32 v8, vcc_lo, s5, v8, vcc_lo
	v_lshlrev_b64_e32 v[30:31], 3, v[30:31]
	v_lshlrev_b64_e32 v[32:33], 3, v[32:33]
	s_wait_loadcnt 0xe
	v_mul_f32_e32 v27, v59, v61
	v_mul_f32_e32 v42, v58, v61
	v_sub_f32_e32 v61, v14, v93
	s_delay_alu instid0(VALU_DEP_3) | instskip(NEXT) | instid1(VALU_DEP_2)
	v_fma_f32 v55, v58, v60, -v27
	v_fma_f32 v89, v14, 2.0, -v61
	s_wait_loadcnt 0x0
	v_mul_f32_e32 v14, v84, v87
	s_delay_alu instid0(VALU_DEP_1) | instskip(SKIP_4) | instid1(VALU_DEP_4)
	v_fmac_f32_e32 v14, v85, v86
	v_sub_f32_e32 v54, v19, v91
	v_fmac_f32_e32 v42, v59, v60
	v_dual_mul_f32 v60, v62, v65 :: v_dual_sub_f32 v59, v15, v92
	v_sub_f32_e32 v38, v17, v38
	v_fma_f32 v58, v19, 2.0, -v54
	v_mul_f32_e32 v19, v63, v65
	s_delay_alu instid0(VALU_DEP_4) | instskip(NEXT) | instid1(VALU_DEP_2)
	v_dual_fmac_f32 v60, v63, v64 :: v_dual_mul_f32 v63, v66, v69
	v_fma_f32 v62, v62, v64, -v19
	v_mul_f32_e32 v19, v67, v69
	v_mul_f32_e32 v64, v71, v73
	;; [unrolled: 1-line block ×4, first 2 shown]
	v_fmac_f32_e32 v63, v67, v68
	v_sub_f32_e32 v65, v37, v94
	v_fma_f32 v66, v66, v68, -v19
	v_sub_f32_e32 v56, v4, v88
	v_mul_f32_e32 v28, v34, v49
	v_mul_f32_e32 v49, v16, v49
	v_fmac_f32_e32 v73, v75, v76
	v_dual_mul_f32 v35, v50, v45 :: v_dual_mul_f32 v50, v39, v50
	v_fmac_f32_e32 v69, v71, v72
	s_delay_alu instid0(VALU_DEP_4) | instskip(SKIP_1) | instid1(VALU_DEP_4)
	v_fma_f32 v27, v34, v11, -v49
	v_add_nc_u32_e32 v48, 0x78, v48
	v_fmac_f32_e32 v35, v39, v44
	v_fma_f32 v34, v44, v45, -v50
	v_mul_f32_e32 v50, v12, v83
	v_mul_f32_e32 v45, v13, v83
	v_fma_f32 v83, v17, 2.0, -v38
	v_mul_f32_e32 v17, v38, v63
	v_mul_f32_e32 v39, v85, v87
	v_fmac_f32_e32 v50, v13, v82
	v_mul_f32_e32 v13, v53, v42
	v_fma_f32 v90, v37, 2.0, -v65
	v_mul_f32_e32 v37, v20, v47
	v_fmac_f32_e32 v17, v57, v66
	v_fma_f32 v39, v84, v86, -v39
	v_fmac_f32_e32 v13, v56, v55
	v_fmac_f32_e32 v28, v16, v11
	s_clause 0x1
	global_store_b64 v[9:10], v[34:35], off
	global_store_b64 v[21:22], v[27:28], off
	v_fma_f32 v10, v58, v41, -v37
	v_mul_f32_e32 v37, v36, v14
	v_mul_f32_e32 v49, v75, v77
	;; [unrolled: 1-line block ×3, first 2 shown]
	v_mov_b32_e32 v24, v2
	v_mul_f32_e32 v16, v79, v81
	v_fma_f32 v81, v3, 2.0, -v53
	v_fmac_f32_e32 v37, v90, v39
	v_dual_mov_b32 v26, v2 :: v_dual_fmac_f32 v77, v79, v80
	v_lshlrev_b64_e32 v[23:24], 3, v[23:24]
	v_fma_f32 v88, v15, 2.0, -v59
	v_mul_f32_e32 v15, v81, v60
	s_delay_alu instid0(VALU_DEP_4)
	v_lshlrev_b64_e32 v[25:26], 3, v[25:26]
	v_mul_f32_e32 v11, v58, v47
	v_fma_f32 v64, v70, v72, -v64
	v_add_co_u32 v23, vcc_lo, s4, v23
	v_mul_f32_e32 v19, v83, v69
	s_wait_alu 0xfffd
	v_add_co_ci_u32_e32 v24, vcc_lo, s5, v24, vcc_lo
	v_add_co_u32 v25, vcc_lo, s4, v25
	v_fmac_f32_e32 v11, v20, v41
	v_mul_f32_e32 v41, v90, v14
	v_fma_f32 v45, v12, v82, -v45
	v_mul_f32_e32 v35, v43, v50
	v_mul_f32_e32 v34, v65, v50
	s_wait_alu 0xfffd
	v_add_co_ci_u32_e32 v26, vcc_lo, s5, v26, vcc_lo
	v_fma_f32 v47, v78, v80, -v16
	v_mul_f32_e32 v28, v89, v77
	v_mul_f32_e32 v27, v88, v77
	v_add_co_u32 v30, vcc_lo, s4, v30
	v_fma_f32 v44, v4, 2.0, -v56
	v_dual_mul_f32 v4, v54, v40 :: v_dual_mul_f32 v21, v61, v73
	v_dual_mul_f32 v20, v59, v73 :: v_dual_fmac_f32 v19, v18, v64
	v_mul_f32_e32 v3, v52, v40
	v_fma_f32 v40, v74, v76, -v49
	s_wait_alu 0xfffd
	v_add_co_ci_u32_e32 v31, vcc_lo, s5, v31, vcc_lo
	v_fma_f32 v36, v36, v39, -v41
	v_add_co_u32 v32, vcc_lo, s4, v32
	v_fmac_f32_e32 v35, v65, v45
	v_fma_f32 v34, v43, v45, -v34
	v_fmac_f32_e32 v28, v88, v47
	v_fma_f32 v27, v89, v47, -v27
	s_wait_alu 0xfffd
	v_add_co_ci_u32_e32 v33, vcc_lo, s5, v33, vcc_lo
	v_fmac_f32_e32 v21, v59, v40
	v_fma_f32 v20, v61, v40, -v20
	s_clause 0x4
	global_store_b64 v[23:24], v[36:37], off
	global_store_b64 v[30:31], v[34:35], off
	;; [unrolled: 1-line block ×5, first 2 shown]
	v_mad_co_u64_u32 v[7:8], null, s8, v48, v[0:1]
	v_add_nc_u32_e32 v1, v1, v46
	v_dual_mul_f32 v9, v56, v42 :: v_dual_mov_b32 v30, v2
	v_mov_b32_e32 v8, v2
	v_add_co_u32 v5, vcc_lo, s4, v5
	s_delay_alu instid0(VALU_DEP_4)
	v_add_nc_u32_e32 v11, 0x78, v1
	v_mad_co_u64_u32 v[20:21], null, s8, v1, v[0:1]
	v_fma_f32 v12, v53, v55, -v9
	v_lshlrev_b64_e32 v[9:10], 3, v[29:30]
	v_mov_b32_e32 v21, v2
	v_mad_co_u64_u32 v[0:1], null, s8, v11, v[0:1]
	v_lshlrev_b64_e32 v[7:8], 3, v[7:8]
	v_mov_b32_e32 v1, v2
	s_wait_alu 0xfffd
	v_add_co_ci_u32_e32 v6, vcc_lo, s5, v6, vcc_lo
	v_add_co_u32 v9, vcc_lo, s4, v9
	v_lshlrev_b64_e32 v[20:21], 3, v[20:21]
	s_wait_alu 0xfffd
	v_add_co_ci_u32_e32 v10, vcc_lo, s5, v10, vcc_lo
	v_mul_f32_e32 v42, v18, v69
	v_add_co_u32 v7, vcc_lo, s4, v7
	v_lshlrev_b64_e32 v[0:1], 3, v[0:1]
	v_mul_f32_e32 v16, v44, v60
	v_mul_f32_e32 v22, v57, v63
	s_wait_alu 0xfffd
	v_add_co_ci_u32_e32 v8, vcc_lo, s5, v8, vcc_lo
	v_add_co_u32 v20, vcc_lo, s4, v20
	v_fmac_f32_e32 v4, v52, v51
	v_fma_f32 v3, v54, v51, -v3
	v_fma_f32 v18, v83, v64, -v42
	s_wait_alu 0xfffd
	v_add_co_ci_u32_e32 v21, vcc_lo, s5, v21, vcc_lo
	v_fma_f32 v14, v81, v62, -v16
	v_fma_f32 v16, v38, v66, -v22
	v_add_co_u32 v0, vcc_lo, s4, v0
	v_fmac_f32_e32 v15, v44, v62
	s_wait_alu 0xfffd
	v_add_co_ci_u32_e32 v1, vcc_lo, s5, v1, vcc_lo
	s_clause 0x4
	global_store_b64 v[5:6], v[3:4], off
	global_store_b64 v[9:10], v[18:19], off
	;; [unrolled: 1-line block ×5, first 2 shown]
.LBB0_36:
	s_nop 0
	s_sendmsg sendmsg(MSG_DEALLOC_VGPRS)
	s_endpgm
	.section	.rodata,"a",@progbits
	.p2align	6, 0x0
	.amdhsa_kernel fft_rtc_fwd_len240_factors_2_3_10_2_2_wgs_180_tpt_20_dim3_sp_ip_CI_sbcc_twdbase8_2step_dirReg_intrinsicReadWrite
		.amdhsa_group_segment_fixed_size 0
		.amdhsa_private_segment_fixed_size 0
		.amdhsa_kernarg_size 88
		.amdhsa_user_sgpr_count 2
		.amdhsa_user_sgpr_dispatch_ptr 0
		.amdhsa_user_sgpr_queue_ptr 0
		.amdhsa_user_sgpr_kernarg_segment_ptr 1
		.amdhsa_user_sgpr_dispatch_id 0
		.amdhsa_user_sgpr_private_segment_size 0
		.amdhsa_wavefront_size32 1
		.amdhsa_uses_dynamic_stack 0
		.amdhsa_enable_private_segment 0
		.amdhsa_system_sgpr_workgroup_id_x 1
		.amdhsa_system_sgpr_workgroup_id_y 0
		.amdhsa_system_sgpr_workgroup_id_z 0
		.amdhsa_system_sgpr_workgroup_info 0
		.amdhsa_system_vgpr_workitem_id 0
		.amdhsa_next_free_vgpr 95
		.amdhsa_next_free_sgpr 26
		.amdhsa_reserve_vcc 1
		.amdhsa_float_round_mode_32 0
		.amdhsa_float_round_mode_16_64 0
		.amdhsa_float_denorm_mode_32 3
		.amdhsa_float_denorm_mode_16_64 3
		.amdhsa_fp16_overflow 0
		.amdhsa_workgroup_processor_mode 1
		.amdhsa_memory_ordered 1
		.amdhsa_forward_progress 0
		.amdhsa_round_robin_scheduling 0
		.amdhsa_exception_fp_ieee_invalid_op 0
		.amdhsa_exception_fp_denorm_src 0
		.amdhsa_exception_fp_ieee_div_zero 0
		.amdhsa_exception_fp_ieee_overflow 0
		.amdhsa_exception_fp_ieee_underflow 0
		.amdhsa_exception_fp_ieee_inexact 0
		.amdhsa_exception_int_div_zero 0
	.end_amdhsa_kernel
	.text
.Lfunc_end0:
	.size	fft_rtc_fwd_len240_factors_2_3_10_2_2_wgs_180_tpt_20_dim3_sp_ip_CI_sbcc_twdbase8_2step_dirReg_intrinsicReadWrite, .Lfunc_end0-fft_rtc_fwd_len240_factors_2_3_10_2_2_wgs_180_tpt_20_dim3_sp_ip_CI_sbcc_twdbase8_2step_dirReg_intrinsicReadWrite
                                        ; -- End function
	.section	.AMDGPU.csdata,"",@progbits
; Kernel info:
; codeLenInByte = 10184
; NumSgprs: 28
; NumVgprs: 95
; ScratchSize: 0
; MemoryBound: 0
; FloatMode: 240
; IeeeMode: 1
; LDSByteSize: 0 bytes/workgroup (compile time only)
; SGPRBlocks: 3
; VGPRBlocks: 11
; NumSGPRsForWavesPerEU: 28
; NumVGPRsForWavesPerEU: 95
; Occupancy: 15
; WaveLimiterHint : 1
; COMPUTE_PGM_RSRC2:SCRATCH_EN: 0
; COMPUTE_PGM_RSRC2:USER_SGPR: 2
; COMPUTE_PGM_RSRC2:TRAP_HANDLER: 0
; COMPUTE_PGM_RSRC2:TGID_X_EN: 1
; COMPUTE_PGM_RSRC2:TGID_Y_EN: 0
; COMPUTE_PGM_RSRC2:TGID_Z_EN: 0
; COMPUTE_PGM_RSRC2:TIDIG_COMP_CNT: 0
	.text
	.p2alignl 7, 3214868480
	.fill 96, 4, 3214868480
	.type	__hip_cuid_331a3a02ce7f1c14,@object ; @__hip_cuid_331a3a02ce7f1c14
	.section	.bss,"aw",@nobits
	.globl	__hip_cuid_331a3a02ce7f1c14
__hip_cuid_331a3a02ce7f1c14:
	.byte	0                               ; 0x0
	.size	__hip_cuid_331a3a02ce7f1c14, 1

	.ident	"AMD clang version 19.0.0git (https://github.com/RadeonOpenCompute/llvm-project roc-6.4.0 25133 c7fe45cf4b819c5991fe208aaa96edf142730f1d)"
	.section	".note.GNU-stack","",@progbits
	.addrsig
	.addrsig_sym __hip_cuid_331a3a02ce7f1c14
	.amdgpu_metadata
---
amdhsa.kernels:
  - .args:
      - .actual_access:  read_only
        .address_space:  global
        .offset:         0
        .size:           8
        .value_kind:     global_buffer
      - .address_space:  global
        .offset:         8
        .size:           8
        .value_kind:     global_buffer
      - .actual_access:  read_only
        .address_space:  global
        .offset:         16
        .size:           8
        .value_kind:     global_buffer
      - .actual_access:  read_only
        .address_space:  global
        .offset:         24
        .size:           8
        .value_kind:     global_buffer
      - .offset:         32
        .size:           8
        .value_kind:     by_value
      - .actual_access:  read_only
        .address_space:  global
        .offset:         40
        .size:           8
        .value_kind:     global_buffer
      - .actual_access:  read_only
        .address_space:  global
        .offset:         48
        .size:           8
        .value_kind:     global_buffer
      - .offset:         56
        .size:           4
        .value_kind:     by_value
      - .actual_access:  read_only
        .address_space:  global
        .offset:         64
        .size:           8
        .value_kind:     global_buffer
      - .actual_access:  read_only
        .address_space:  global
        .offset:         72
        .size:           8
        .value_kind:     global_buffer
      - .address_space:  global
        .offset:         80
        .size:           8
        .value_kind:     global_buffer
    .group_segment_fixed_size: 0
    .kernarg_segment_align: 8
    .kernarg_segment_size: 88
    .language:       OpenCL C
    .language_version:
      - 2
      - 0
    .max_flat_workgroup_size: 180
    .name:           fft_rtc_fwd_len240_factors_2_3_10_2_2_wgs_180_tpt_20_dim3_sp_ip_CI_sbcc_twdbase8_2step_dirReg_intrinsicReadWrite
    .private_segment_fixed_size: 0
    .sgpr_count:     28
    .sgpr_spill_count: 0
    .symbol:         fft_rtc_fwd_len240_factors_2_3_10_2_2_wgs_180_tpt_20_dim3_sp_ip_CI_sbcc_twdbase8_2step_dirReg_intrinsicReadWrite.kd
    .uniform_work_group_size: 1
    .uses_dynamic_stack: false
    .vgpr_count:     95
    .vgpr_spill_count: 0
    .wavefront_size: 32
    .workgroup_processor_mode: 1
amdhsa.target:   amdgcn-amd-amdhsa--gfx1201
amdhsa.version:
  - 1
  - 2
...

	.end_amdgpu_metadata
